;; amdgpu-corpus repo=zjin-lcf/HeCBench kind=compiled arch=gfx90a opt=O3
	.text
	.amdgcn_target "amdgcn-amd-amdhsa--gfx90a"
	.amdhsa_code_object_version 6
	.protected	_Z11setupKernelPj       ; -- Begin function _Z11setupKernelPj
	.globl	_Z11setupKernelPj
	.p2align	8
	.type	_Z11setupKernelPj,@function
_Z11setupKernelPj:                      ; @_Z11setupKernelPj
; %bb.0:
	s_load_dword s2, s[4:5], 0x14
	s_load_dwordx2 s[0:1], s[4:5], 0x0
	s_waitcnt lgkmcnt(0)
	s_and_b32 s2, s2, 0xffff
	s_mul_i32 s6, s6, s2
	v_add_u32_e32 v0, s6, v0
	v_ashrrev_i32_e32 v1, 31, v0
	v_lshlrev_b64 v[2:3], 2, v[0:1]
	v_mov_b32_e32 v4, s1
	v_add_co_u32_e32 v2, vcc, s0, v2
	v_addc_co_u32_e32 v3, vcc, v4, v3, vcc
	v_cmp_lt_i32_e32 vcc, 0, v0
	global_store_dword v[2:3], v0, off
	s_and_saveexec_b64 s[0:1], vcc
	s_cbranch_execz .LBB0_4
; %bb.1:
	s_mov_b64 s[0:1], 0
	s_mov_b32 s2, 0x1984a2d
	v_mov_b32_e32 v1, v0
.LBB0_2:                                ; =>This Inner Loop Header: Depth=1
	v_add_u32_e32 v0, -1, v0
	v_mad_u64_u32 v[4:5], s[4:5], v1, s2, 1
	v_cmp_eq_u32_e32 vcc, 0, v0
	s_or_b64 s[0:1], vcc, s[0:1]
	v_and_b32_e32 v1, 0x7fffffff, v4
	s_andn2_b64 exec, exec, s[0:1]
	s_cbranch_execnz .LBB0_2
; %bb.3:
	s_or_b64 exec, exec, s[0:1]
	global_store_dword v[2:3], v1, off
.LBB0_4:
	s_endpgm
	.section	.rodata,"a",@progbits
	.p2align	6, 0x0
	.amdhsa_kernel _Z11setupKernelPj
		.amdhsa_group_segment_fixed_size 0
		.amdhsa_private_segment_fixed_size 0
		.amdhsa_kernarg_size 264
		.amdhsa_user_sgpr_count 6
		.amdhsa_user_sgpr_private_segment_buffer 1
		.amdhsa_user_sgpr_dispatch_ptr 0
		.amdhsa_user_sgpr_queue_ptr 0
		.amdhsa_user_sgpr_kernarg_segment_ptr 1
		.amdhsa_user_sgpr_dispatch_id 0
		.amdhsa_user_sgpr_flat_scratch_init 0
		.amdhsa_user_sgpr_kernarg_preload_length 0
		.amdhsa_user_sgpr_kernarg_preload_offset 0
		.amdhsa_user_sgpr_private_segment_size 0
		.amdhsa_uses_dynamic_stack 0
		.amdhsa_system_sgpr_private_segment_wavefront_offset 0
		.amdhsa_system_sgpr_workgroup_id_x 1
		.amdhsa_system_sgpr_workgroup_id_y 0
		.amdhsa_system_sgpr_workgroup_id_z 0
		.amdhsa_system_sgpr_workgroup_info 0
		.amdhsa_system_vgpr_workitem_id 0
		.amdhsa_next_free_vgpr 6
		.amdhsa_next_free_sgpr 7
		.amdhsa_accum_offset 8
		.amdhsa_reserve_vcc 1
		.amdhsa_reserve_flat_scratch 0
		.amdhsa_float_round_mode_32 0
		.amdhsa_float_round_mode_16_64 0
		.amdhsa_float_denorm_mode_32 3
		.amdhsa_float_denorm_mode_16_64 3
		.amdhsa_dx10_clamp 1
		.amdhsa_ieee_mode 1
		.amdhsa_fp16_overflow 0
		.amdhsa_tg_split 0
		.amdhsa_exception_fp_ieee_invalid_op 0
		.amdhsa_exception_fp_denorm_src 0
		.amdhsa_exception_fp_ieee_div_zero 0
		.amdhsa_exception_fp_ieee_overflow 0
		.amdhsa_exception_fp_ieee_underflow 0
		.amdhsa_exception_fp_ieee_inexact 0
		.amdhsa_exception_int_div_zero 0
	.end_amdhsa_kernel
	.text
.Lfunc_end0:
	.size	_Z11setupKernelPj, .Lfunc_end0-_Z11setupKernelPj
                                        ; -- End function
	.section	.AMDGPU.csdata,"",@progbits
; Kernel info:
; codeLenInByte = 148
; NumSgprs: 11
; NumVgprs: 6
; NumAgprs: 0
; TotalNumVgprs: 6
; ScratchSize: 0
; MemoryBound: 0
; FloatMode: 240
; IeeeMode: 1
; LDSByteSize: 0 bytes/workgroup (compile time only)
; SGPRBlocks: 1
; VGPRBlocks: 0
; NumSGPRsForWavesPerEU: 11
; NumVGPRsForWavesPerEU: 6
; AccumOffset: 8
; Occupancy: 8
; WaveLimiterHint : 0
; COMPUTE_PGM_RSRC2:SCRATCH_EN: 0
; COMPUTE_PGM_RSRC2:USER_SGPR: 6
; COMPUTE_PGM_RSRC2:TRAP_HANDLER: 0
; COMPUTE_PGM_RSRC2:TGID_X_EN: 1
; COMPUTE_PGM_RSRC2:TGID_Y_EN: 0
; COMPUTE_PGM_RSRC2:TGID_Z_EN: 0
; COMPUTE_PGM_RSRC2:TIDIG_COMP_CNT: 0
; COMPUTE_PGM_RSRC3_GFX90A:ACCUM_OFFSET: 1
; COMPUTE_PGM_RSRC3_GFX90A:TG_SPLIT: 0
	.text
	.protected	_Z6decodePKfPKiPKjPi    ; -- Begin function _Z6decodePKfPKiPKjPi
	.globl	_Z6decodePKfPKiPKjPi
	.p2align	8
	.type	_Z6decodePKfPKiPKjPi,@function
_Z6decodePKfPKiPKjPi:                   ; @_Z6decodePKfPKiPKjPi
; %bb.0:
	s_add_u32 s0, s0, s9
	s_load_dword s9, s[4:5], 0x2c
	s_load_dwordx2 s[6:7], s[4:5], 0x10
	s_addc_u32 s1, s1, 0
	s_waitcnt lgkmcnt(0)
	s_and_b32 s9, s9, 0xffff
	s_mul_i32 s8, s8, s9
	v_add_u32_e32 v2, s8, v0
	v_ashrrev_i32_e32 v3, 31, v2
	v_lshlrev_b64 v[4:5], 2, v[2:3]
	v_mov_b32_e32 v1, s7
	v_add_co_u32_e32 v4, vcc, s6, v4
	v_addc_co_u32_e32 v5, vcc, v1, v5, vcc
	global_load_dword v1, v[4:5], off
	v_cmp_eq_u32_e32 vcc, 0, v0
	s_and_saveexec_b64 s[6:7], vcc
	s_cbranch_execz .LBB1_2
; %bb.1:
	s_load_dwordx2 s[24:25], s[4:5], 0x0
	v_mov_b32_e32 v0, 0
	s_waitcnt lgkmcnt(0)
	s_load_dwordx16 s[8:23], s[24:25], 0x0
	s_waitcnt lgkmcnt(0)
	v_mov_b32_e32 v4, s8
	v_mov_b32_e32 v5, s9
	;; [unrolled: 1-line block ×8, first 2 shown]
	ds_write_b128 v0, v[4:7]
	ds_write_b128 v0, v[8:11] offset:16
	s_load_dwordx16 s[36:51], s[24:25], 0x40
	v_mov_b32_e32 v4, s16
	v_mov_b32_e32 v5, s17
	v_mov_b32_e32 v6, s18
	v_mov_b32_e32 v7, s19
	ds_write_b128 v0, v[4:7] offset:32
	v_mov_b32_e32 v4, s20
	v_mov_b32_e32 v5, s21
	v_mov_b32_e32 v6, s22
	v_mov_b32_e32 v7, s23
	s_load_dwordx16 s[8:23], s[24:25], 0x80
	ds_write_b128 v0, v[4:7] offset:48
	s_waitcnt lgkmcnt(0)
	v_mov_b32_e32 v4, s36
	v_mov_b32_e32 v5, s37
	v_mov_b32_e32 v6, s38
	v_mov_b32_e32 v7, s39
	ds_write_b128 v0, v[4:7] offset:64
	v_mov_b32_e32 v4, s40
	v_mov_b32_e32 v5, s41
	v_mov_b32_e32 v6, s42
	v_mov_b32_e32 v7, s43
	ds_write_b128 v0, v[4:7] offset:80
	v_mov_b32_e32 v4, s44
	v_mov_b32_e32 v5, s45
	v_mov_b32_e32 v6, s46
	v_mov_b32_e32 v7, s47
	ds_write_b128 v0, v[4:7] offset:96
	v_mov_b32_e32 v4, s48
	v_mov_b32_e32 v5, s49
	v_mov_b32_e32 v6, s50
	v_mov_b32_e32 v7, s51
	s_load_dwordx16 s[36:51], s[24:25], 0xc0
	ds_write_b128 v0, v[4:7] offset:112
	v_mov_b32_e32 v4, s8
	v_mov_b32_e32 v5, s9
	v_mov_b32_e32 v6, s10
	v_mov_b32_e32 v7, s11
	ds_write_b128 v0, v[4:7] offset:128
	v_mov_b32_e32 v4, s12
	v_mov_b32_e32 v5, s13
	v_mov_b32_e32 v6, s14
	v_mov_b32_e32 v7, s15
	ds_write_b128 v0, v[4:7] offset:144
	v_mov_b32_e32 v4, s16
	v_mov_b32_e32 v5, s17
	v_mov_b32_e32 v6, s18
	v_mov_b32_e32 v7, s19
	ds_write_b128 v0, v[4:7] offset:160
	v_mov_b32_e32 v4, s20
	v_mov_b32_e32 v5, s21
	v_mov_b32_e32 v6, s22
	v_mov_b32_e32 v7, s23
	s_load_dwordx16 s[8:23], s[24:25], 0x100
	ds_write_b128 v0, v[4:7] offset:176
	s_waitcnt lgkmcnt(0)
	v_mov_b32_e32 v4, s36
	v_mov_b32_e32 v5, s37
	v_mov_b32_e32 v6, s38
	v_mov_b32_e32 v7, s39
	ds_write_b128 v0, v[4:7] offset:192
	v_mov_b32_e32 v4, s40
	v_mov_b32_e32 v5, s41
	v_mov_b32_e32 v6, s42
	v_mov_b32_e32 v7, s43
	ds_write_b128 v0, v[4:7] offset:208
	v_mov_b32_e32 v4, s44
	v_mov_b32_e32 v5, s45
	v_mov_b32_e32 v6, s46
	v_mov_b32_e32 v7, s47
	ds_write_b128 v0, v[4:7] offset:224
	v_mov_b32_e32 v4, s48
	v_mov_b32_e32 v5, s49
	v_mov_b32_e32 v6, s50
	v_mov_b32_e32 v7, s51
	s_load_dwordx16 s[36:51], s[24:25], 0x140
	ds_write_b128 v0, v[4:7] offset:240
	v_mov_b32_e32 v4, s8
	v_mov_b32_e32 v5, s9
	v_mov_b32_e32 v6, s10
	v_mov_b32_e32 v7, s11
	ds_write_b128 v0, v[4:7] offset:256
	v_mov_b32_e32 v4, s12
	v_mov_b32_e32 v5, s13
	v_mov_b32_e32 v6, s14
	v_mov_b32_e32 v7, s15
	ds_write_b128 v0, v[4:7] offset:272
	v_mov_b32_e32 v4, s16
	v_mov_b32_e32 v5, s17
	v_mov_b32_e32 v6, s18
	v_mov_b32_e32 v7, s19
	ds_write_b128 v0, v[4:7] offset:288
	v_mov_b32_e32 v4, s20
	v_mov_b32_e32 v5, s21
	v_mov_b32_e32 v6, s22
	v_mov_b32_e32 v7, s23
	s_load_dwordx16 s[8:23], s[24:25], 0x180
	ds_write_b128 v0, v[4:7] offset:304
	s_waitcnt lgkmcnt(0)
	v_mov_b32_e32 v4, s36
	v_mov_b32_e32 v5, s37
	v_mov_b32_e32 v6, s38
	v_mov_b32_e32 v7, s39
	ds_write_b128 v0, v[4:7] offset:320
	v_mov_b32_e32 v4, s40
	v_mov_b32_e32 v5, s41
	v_mov_b32_e32 v6, s42
	v_mov_b32_e32 v7, s43
	ds_write_b128 v0, v[4:7] offset:336
	v_mov_b32_e32 v4, s44
	v_mov_b32_e32 v5, s45
	v_mov_b32_e32 v6, s46
	v_mov_b32_e32 v7, s47
	ds_write_b128 v0, v[4:7] offset:352
	v_mov_b32_e32 v4, s48
	v_mov_b32_e32 v5, s49
	v_mov_b32_e32 v6, s50
	v_mov_b32_e32 v7, s51
	s_load_dwordx16 s[36:51], s[24:25], 0x1c0
	ds_write_b128 v0, v[4:7] offset:368
	v_mov_b32_e32 v4, s8
	v_mov_b32_e32 v5, s9
	v_mov_b32_e32 v6, s10
	v_mov_b32_e32 v7, s11
	ds_write_b128 v0, v[4:7] offset:384
	v_mov_b32_e32 v4, s12
	v_mov_b32_e32 v5, s13
	v_mov_b32_e32 v6, s14
	v_mov_b32_e32 v7, s15
	ds_write_b128 v0, v[4:7] offset:400
	v_mov_b32_e32 v4, s16
	v_mov_b32_e32 v5, s17
	v_mov_b32_e32 v6, s18
	v_mov_b32_e32 v7, s19
	ds_write_b128 v0, v[4:7] offset:416
	v_mov_b32_e32 v4, s20
	v_mov_b32_e32 v5, s21
	v_mov_b32_e32 v6, s22
	v_mov_b32_e32 v7, s23
	s_load_dwordx16 s[8:23], s[24:25], 0x200
	ds_write_b128 v0, v[4:7] offset:432
	s_waitcnt lgkmcnt(0)
	v_mov_b32_e32 v4, s36
	v_mov_b32_e32 v5, s37
	v_mov_b32_e32 v6, s38
	v_mov_b32_e32 v7, s39
	ds_write_b128 v0, v[4:7] offset:448
	v_mov_b32_e32 v4, s40
	v_mov_b32_e32 v5, s41
	v_mov_b32_e32 v6, s42
	v_mov_b32_e32 v7, s43
	ds_write_b128 v0, v[4:7] offset:464
	v_mov_b32_e32 v4, s44
	v_mov_b32_e32 v5, s45
	v_mov_b32_e32 v6, s46
	v_mov_b32_e32 v7, s47
	ds_write_b128 v0, v[4:7] offset:480
	v_mov_b32_e32 v4, s48
	v_mov_b32_e32 v5, s49
	v_mov_b32_e32 v6, s50
	v_mov_b32_e32 v7, s51
	s_load_dwordx16 s[36:51], s[24:25], 0x240
	ds_write_b128 v0, v[4:7] offset:496
	v_mov_b32_e32 v4, s8
	v_mov_b32_e32 v5, s9
	v_mov_b32_e32 v6, s10
	v_mov_b32_e32 v7, s11
	ds_write_b128 v0, v[4:7] offset:512
	v_mov_b32_e32 v4, s12
	v_mov_b32_e32 v5, s13
	v_mov_b32_e32 v6, s14
	v_mov_b32_e32 v7, s15
	ds_write_b128 v0, v[4:7] offset:528
	v_mov_b32_e32 v4, s16
	v_mov_b32_e32 v5, s17
	v_mov_b32_e32 v6, s18
	v_mov_b32_e32 v7, s19
	ds_write_b128 v0, v[4:7] offset:544
	v_mov_b32_e32 v4, s20
	v_mov_b32_e32 v5, s21
	v_mov_b32_e32 v6, s22
	v_mov_b32_e32 v7, s23
	s_load_dwordx16 s[8:23], s[24:25], 0x280
	ds_write_b128 v0, v[4:7] offset:560
	s_waitcnt lgkmcnt(0)
	v_mov_b32_e32 v4, s36
	v_mov_b32_e32 v5, s37
	v_mov_b32_e32 v6, s38
	v_mov_b32_e32 v7, s39
	ds_write_b128 v0, v[4:7] offset:576
	v_mov_b32_e32 v4, s40
	v_mov_b32_e32 v5, s41
	v_mov_b32_e32 v6, s42
	v_mov_b32_e32 v7, s43
	ds_write_b128 v0, v[4:7] offset:592
	v_mov_b32_e32 v4, s44
	v_mov_b32_e32 v5, s45
	v_mov_b32_e32 v6, s46
	v_mov_b32_e32 v7, s47
	ds_write_b128 v0, v[4:7] offset:608
	v_mov_b32_e32 v4, s48
	v_mov_b32_e32 v5, s49
	v_mov_b32_e32 v6, s50
	v_mov_b32_e32 v7, s51
	s_load_dwordx16 s[36:51], s[24:25], 0x2c0
	ds_write_b128 v0, v[4:7] offset:624
	v_mov_b32_e32 v4, s8
	v_mov_b32_e32 v5, s9
	v_mov_b32_e32 v6, s10
	v_mov_b32_e32 v7, s11
	ds_write_b128 v0, v[4:7] offset:640
	v_mov_b32_e32 v4, s12
	v_mov_b32_e32 v5, s13
	v_mov_b32_e32 v6, s14
	v_mov_b32_e32 v7, s15
	ds_write_b128 v0, v[4:7] offset:656
	v_mov_b32_e32 v4, s16
	v_mov_b32_e32 v5, s17
	v_mov_b32_e32 v6, s18
	v_mov_b32_e32 v7, s19
	ds_write_b128 v0, v[4:7] offset:672
	v_mov_b32_e32 v4, s20
	v_mov_b32_e32 v5, s21
	v_mov_b32_e32 v6, s22
	v_mov_b32_e32 v7, s23
	s_load_dwordx16 s[8:23], s[24:25], 0x300
	ds_write_b128 v0, v[4:7] offset:688
	s_waitcnt lgkmcnt(0)
	v_mov_b32_e32 v4, s36
	v_mov_b32_e32 v5, s37
	v_mov_b32_e32 v6, s38
	v_mov_b32_e32 v7, s39
	ds_write_b128 v0, v[4:7] offset:704
	v_mov_b32_e32 v4, s40
	v_mov_b32_e32 v5, s41
	v_mov_b32_e32 v6, s42
	v_mov_b32_e32 v7, s43
	ds_write_b128 v0, v[4:7] offset:720
	v_mov_b32_e32 v4, s44
	v_mov_b32_e32 v5, s45
	v_mov_b32_e32 v6, s46
	v_mov_b32_e32 v7, s47
	ds_write_b128 v0, v[4:7] offset:736
	v_mov_b32_e32 v4, s48
	v_mov_b32_e32 v5, s49
	v_mov_b32_e32 v6, s50
	v_mov_b32_e32 v7, s51
	s_load_dwordx16 s[36:51], s[24:25], 0x340
	ds_write_b128 v0, v[4:7] offset:752
	v_mov_b32_e32 v4, s8
	v_mov_b32_e32 v5, s9
	v_mov_b32_e32 v6, s10
	v_mov_b32_e32 v7, s11
	ds_write_b128 v0, v[4:7] offset:768
	v_mov_b32_e32 v4, s12
	v_mov_b32_e32 v5, s13
	v_mov_b32_e32 v6, s14
	v_mov_b32_e32 v7, s15
	ds_write_b128 v0, v[4:7] offset:784
	v_mov_b32_e32 v4, s16
	v_mov_b32_e32 v5, s17
	v_mov_b32_e32 v6, s18
	v_mov_b32_e32 v7, s19
	ds_write_b128 v0, v[4:7] offset:800
	v_mov_b32_e32 v4, s20
	v_mov_b32_e32 v5, s21
	v_mov_b32_e32 v6, s22
	v_mov_b32_e32 v7, s23
	s_load_dwordx16 s[8:23], s[24:25], 0x380
	ds_write_b128 v0, v[4:7] offset:816
	s_waitcnt lgkmcnt(0)
	v_mov_b32_e32 v4, s36
	v_mov_b32_e32 v5, s37
	v_mov_b32_e32 v6, s38
	v_mov_b32_e32 v7, s39
	ds_write_b128 v0, v[4:7] offset:832
	v_mov_b32_e32 v4, s40
	v_mov_b32_e32 v5, s41
	v_mov_b32_e32 v6, s42
	v_mov_b32_e32 v7, s43
	ds_write_b128 v0, v[4:7] offset:848
	v_mov_b32_e32 v4, s44
	v_mov_b32_e32 v5, s45
	v_mov_b32_e32 v6, s46
	v_mov_b32_e32 v7, s47
	ds_write_b128 v0, v[4:7] offset:864
	v_mov_b32_e32 v4, s48
	v_mov_b32_e32 v5, s49
	v_mov_b32_e32 v6, s50
	v_mov_b32_e32 v7, s51
	s_load_dwordx16 s[36:51], s[24:25], 0x3c0
	ds_write_b128 v0, v[4:7] offset:880
	v_mov_b32_e32 v4, s8
	v_mov_b32_e32 v5, s9
	v_mov_b32_e32 v6, s10
	v_mov_b32_e32 v7, s11
	ds_write_b128 v0, v[4:7] offset:896
	v_mov_b32_e32 v4, s12
	v_mov_b32_e32 v5, s13
	v_mov_b32_e32 v6, s14
	v_mov_b32_e32 v7, s15
	ds_write_b128 v0, v[4:7] offset:912
	v_mov_b32_e32 v4, s16
	v_mov_b32_e32 v5, s17
	v_mov_b32_e32 v6, s18
	v_mov_b32_e32 v7, s19
	ds_write_b128 v0, v[4:7] offset:928
	v_mov_b32_e32 v4, s20
	v_mov_b32_e32 v5, s21
	v_mov_b32_e32 v6, s22
	v_mov_b32_e32 v7, s23
	s_load_dwordx16 s[8:23], s[24:25], 0x400
	ds_write_b128 v0, v[4:7] offset:944
	s_waitcnt lgkmcnt(0)
	v_mov_b32_e32 v4, s36
	v_mov_b32_e32 v5, s37
	v_mov_b32_e32 v6, s38
	v_mov_b32_e32 v7, s39
	ds_write_b128 v0, v[4:7] offset:960
	v_mov_b32_e32 v4, s40
	v_mov_b32_e32 v5, s41
	v_mov_b32_e32 v6, s42
	v_mov_b32_e32 v7, s43
	ds_write_b128 v0, v[4:7] offset:976
	v_mov_b32_e32 v4, s44
	v_mov_b32_e32 v5, s45
	v_mov_b32_e32 v6, s46
	v_mov_b32_e32 v7, s47
	ds_write_b128 v0, v[4:7] offset:992
	v_mov_b32_e32 v4, s48
	v_mov_b32_e32 v5, s49
	v_mov_b32_e32 v6, s50
	v_mov_b32_e32 v7, s51
	s_load_dwordx16 s[36:51], s[24:25], 0x440
	ds_write_b128 v0, v[4:7] offset:1008
	v_mov_b32_e32 v4, s8
	v_mov_b32_e32 v5, s9
	v_mov_b32_e32 v6, s10
	v_mov_b32_e32 v7, s11
	ds_write_b128 v0, v[4:7] offset:1024
	v_mov_b32_e32 v4, s12
	v_mov_b32_e32 v5, s13
	v_mov_b32_e32 v6, s14
	v_mov_b32_e32 v7, s15
	ds_write_b128 v0, v[4:7] offset:1040
	v_mov_b32_e32 v4, s16
	v_mov_b32_e32 v5, s17
	v_mov_b32_e32 v6, s18
	v_mov_b32_e32 v7, s19
	ds_write_b128 v0, v[4:7] offset:1056
	v_mov_b32_e32 v4, s20
	v_mov_b32_e32 v5, s21
	v_mov_b32_e32 v6, s22
	v_mov_b32_e32 v7, s23
	s_load_dwordx16 s[8:23], s[24:25], 0x480
	ds_write_b128 v0, v[4:7] offset:1072
	s_waitcnt lgkmcnt(0)
	v_mov_b32_e32 v4, s36
	v_mov_b32_e32 v5, s37
	v_mov_b32_e32 v6, s38
	v_mov_b32_e32 v7, s39
	ds_write_b128 v0, v[4:7] offset:1088
	v_mov_b32_e32 v4, s40
	v_mov_b32_e32 v5, s41
	v_mov_b32_e32 v6, s42
	v_mov_b32_e32 v7, s43
	ds_write_b128 v0, v[4:7] offset:1104
	v_mov_b32_e32 v4, s44
	v_mov_b32_e32 v5, s45
	v_mov_b32_e32 v6, s46
	v_mov_b32_e32 v7, s47
	ds_write_b128 v0, v[4:7] offset:1120
	v_mov_b32_e32 v4, s48
	v_mov_b32_e32 v5, s49
	v_mov_b32_e32 v6, s50
	v_mov_b32_e32 v7, s51
	s_load_dwordx16 s[36:51], s[24:25], 0x4c0
	ds_write_b128 v0, v[4:7] offset:1136
	v_mov_b32_e32 v4, s8
	v_mov_b32_e32 v5, s9
	v_mov_b32_e32 v6, s10
	v_mov_b32_e32 v7, s11
	ds_write_b128 v0, v[4:7] offset:1152
	v_mov_b32_e32 v4, s12
	v_mov_b32_e32 v5, s13
	v_mov_b32_e32 v6, s14
	v_mov_b32_e32 v7, s15
	ds_write_b128 v0, v[4:7] offset:1168
	v_mov_b32_e32 v4, s16
	v_mov_b32_e32 v5, s17
	v_mov_b32_e32 v6, s18
	v_mov_b32_e32 v7, s19
	ds_write_b128 v0, v[4:7] offset:1184
	v_mov_b32_e32 v4, s20
	v_mov_b32_e32 v5, s21
	v_mov_b32_e32 v6, s22
	v_mov_b32_e32 v7, s23
	s_load_dwordx16 s[8:23], s[24:25], 0x500
	ds_write_b128 v0, v[4:7] offset:1200
	s_waitcnt lgkmcnt(0)
	v_mov_b32_e32 v4, s36
	v_mov_b32_e32 v5, s37
	v_mov_b32_e32 v6, s38
	v_mov_b32_e32 v7, s39
	ds_write_b128 v0, v[4:7] offset:1216
	v_mov_b32_e32 v4, s40
	v_mov_b32_e32 v5, s41
	v_mov_b32_e32 v6, s42
	v_mov_b32_e32 v7, s43
	ds_write_b128 v0, v[4:7] offset:1232
	v_mov_b32_e32 v4, s44
	v_mov_b32_e32 v5, s45
	v_mov_b32_e32 v6, s46
	v_mov_b32_e32 v7, s47
	ds_write_b128 v0, v[4:7] offset:1248
	v_mov_b32_e32 v4, s48
	v_mov_b32_e32 v5, s49
	v_mov_b32_e32 v6, s50
	v_mov_b32_e32 v7, s51
	s_load_dwordx16 s[36:51], s[24:25], 0x540
	ds_write_b128 v0, v[4:7] offset:1264
	v_mov_b32_e32 v4, s8
	v_mov_b32_e32 v5, s9
	v_mov_b32_e32 v6, s10
	v_mov_b32_e32 v7, s11
	ds_write_b128 v0, v[4:7] offset:1280
	v_mov_b32_e32 v4, s12
	v_mov_b32_e32 v5, s13
	v_mov_b32_e32 v6, s14
	v_mov_b32_e32 v7, s15
	ds_write_b128 v0, v[4:7] offset:1296
	v_mov_b32_e32 v4, s16
	v_mov_b32_e32 v5, s17
	v_mov_b32_e32 v6, s18
	v_mov_b32_e32 v7, s19
	ds_write_b128 v0, v[4:7] offset:1312
	v_mov_b32_e32 v4, s20
	v_mov_b32_e32 v5, s21
	v_mov_b32_e32 v6, s22
	v_mov_b32_e32 v7, s23
	s_load_dwordx16 s[8:23], s[24:25], 0x580
	ds_write_b128 v0, v[4:7] offset:1328
	s_waitcnt lgkmcnt(0)
	v_mov_b32_e32 v4, s36
	v_mov_b32_e32 v5, s37
	v_mov_b32_e32 v6, s38
	v_mov_b32_e32 v7, s39
	ds_write_b128 v0, v[4:7] offset:1344
	v_mov_b32_e32 v4, s40
	v_mov_b32_e32 v5, s41
	v_mov_b32_e32 v6, s42
	v_mov_b32_e32 v7, s43
	ds_write_b128 v0, v[4:7] offset:1360
	v_mov_b32_e32 v4, s44
	v_mov_b32_e32 v5, s45
	v_mov_b32_e32 v6, s46
	v_mov_b32_e32 v7, s47
	ds_write_b128 v0, v[4:7] offset:1376
	v_mov_b32_e32 v4, s48
	v_mov_b32_e32 v5, s49
	v_mov_b32_e32 v6, s50
	v_mov_b32_e32 v7, s51
	s_load_dwordx16 s[36:51], s[24:25], 0x5c0
	ds_write_b128 v0, v[4:7] offset:1392
	v_mov_b32_e32 v4, s8
	v_mov_b32_e32 v5, s9
	v_mov_b32_e32 v6, s10
	v_mov_b32_e32 v7, s11
	ds_write_b128 v0, v[4:7] offset:1408
	v_mov_b32_e32 v4, s12
	v_mov_b32_e32 v5, s13
	v_mov_b32_e32 v6, s14
	v_mov_b32_e32 v7, s15
	ds_write_b128 v0, v[4:7] offset:1424
	v_mov_b32_e32 v4, s16
	v_mov_b32_e32 v5, s17
	v_mov_b32_e32 v6, s18
	v_mov_b32_e32 v7, s19
	ds_write_b128 v0, v[4:7] offset:1440
	v_mov_b32_e32 v4, s20
	v_mov_b32_e32 v5, s21
	v_mov_b32_e32 v6, s22
	v_mov_b32_e32 v7, s23
	s_load_dwordx16 s[8:23], s[24:25], 0x600
	ds_write_b128 v0, v[4:7] offset:1456
	s_waitcnt lgkmcnt(0)
	v_mov_b32_e32 v4, s36
	v_mov_b32_e32 v5, s37
	v_mov_b32_e32 v6, s38
	v_mov_b32_e32 v7, s39
	ds_write_b128 v0, v[4:7] offset:1472
	v_mov_b32_e32 v4, s40
	v_mov_b32_e32 v5, s41
	v_mov_b32_e32 v6, s42
	v_mov_b32_e32 v7, s43
	ds_write_b128 v0, v[4:7] offset:1488
	v_mov_b32_e32 v4, s44
	v_mov_b32_e32 v5, s45
	v_mov_b32_e32 v6, s46
	v_mov_b32_e32 v7, s47
	ds_write_b128 v0, v[4:7] offset:1504
	v_mov_b32_e32 v4, s48
	v_mov_b32_e32 v5, s49
	v_mov_b32_e32 v6, s50
	v_mov_b32_e32 v7, s51
	s_load_dwordx16 s[36:51], s[24:25], 0x640
	ds_write_b128 v0, v[4:7] offset:1520
	v_mov_b32_e32 v4, s8
	v_mov_b32_e32 v5, s9
	v_mov_b32_e32 v6, s10
	v_mov_b32_e32 v7, s11
	ds_write_b128 v0, v[4:7] offset:1536
	v_mov_b32_e32 v4, s12
	v_mov_b32_e32 v5, s13
	v_mov_b32_e32 v6, s14
	v_mov_b32_e32 v7, s15
	ds_write_b128 v0, v[4:7] offset:1552
	v_mov_b32_e32 v4, s16
	v_mov_b32_e32 v5, s17
	v_mov_b32_e32 v6, s18
	v_mov_b32_e32 v7, s19
	ds_write_b128 v0, v[4:7] offset:1568
	v_mov_b32_e32 v4, s20
	v_mov_b32_e32 v5, s21
	v_mov_b32_e32 v6, s22
	v_mov_b32_e32 v7, s23
	s_load_dwordx16 s[8:23], s[24:25], 0x680
	ds_write_b128 v0, v[4:7] offset:1584
	s_waitcnt lgkmcnt(0)
	v_mov_b32_e32 v4, s36
	v_mov_b32_e32 v5, s37
	v_mov_b32_e32 v6, s38
	v_mov_b32_e32 v7, s39
	ds_write_b128 v0, v[4:7] offset:1600
	v_mov_b32_e32 v4, s40
	v_mov_b32_e32 v5, s41
	v_mov_b32_e32 v6, s42
	v_mov_b32_e32 v7, s43
	ds_write_b128 v0, v[4:7] offset:1616
	v_mov_b32_e32 v4, s44
	v_mov_b32_e32 v5, s45
	v_mov_b32_e32 v6, s46
	v_mov_b32_e32 v7, s47
	ds_write_b128 v0, v[4:7] offset:1632
	v_mov_b32_e32 v4, s48
	v_mov_b32_e32 v5, s49
	v_mov_b32_e32 v6, s50
	v_mov_b32_e32 v7, s51
	s_load_dwordx16 s[36:51], s[24:25], 0x6c0
	ds_write_b128 v0, v[4:7] offset:1648
	v_mov_b32_e32 v4, s8
	v_mov_b32_e32 v5, s9
	v_mov_b32_e32 v6, s10
	v_mov_b32_e32 v7, s11
	ds_write_b128 v0, v[4:7] offset:1664
	v_mov_b32_e32 v4, s12
	v_mov_b32_e32 v5, s13
	v_mov_b32_e32 v6, s14
	v_mov_b32_e32 v7, s15
	ds_write_b128 v0, v[4:7] offset:1680
	v_mov_b32_e32 v4, s16
	v_mov_b32_e32 v5, s17
	v_mov_b32_e32 v6, s18
	v_mov_b32_e32 v7, s19
	ds_write_b128 v0, v[4:7] offset:1696
	v_mov_b32_e32 v4, s20
	v_mov_b32_e32 v5, s21
	v_mov_b32_e32 v6, s22
	v_mov_b32_e32 v7, s23
	s_load_dwordx16 s[8:23], s[24:25], 0x700
	ds_write_b128 v0, v[4:7] offset:1712
	s_waitcnt lgkmcnt(0)
	v_mov_b32_e32 v4, s36
	v_mov_b32_e32 v5, s37
	v_mov_b32_e32 v6, s38
	v_mov_b32_e32 v7, s39
	ds_write_b128 v0, v[4:7] offset:1728
	v_mov_b32_e32 v4, s40
	v_mov_b32_e32 v5, s41
	v_mov_b32_e32 v6, s42
	v_mov_b32_e32 v7, s43
	ds_write_b128 v0, v[4:7] offset:1744
	v_mov_b32_e32 v4, s44
	v_mov_b32_e32 v5, s45
	v_mov_b32_e32 v6, s46
	v_mov_b32_e32 v7, s47
	ds_write_b128 v0, v[4:7] offset:1760
	v_mov_b32_e32 v4, s48
	v_mov_b32_e32 v5, s49
	v_mov_b32_e32 v6, s50
	v_mov_b32_e32 v7, s51
	s_load_dwordx16 s[36:51], s[24:25], 0x740
	ds_write_b128 v0, v[4:7] offset:1776
	v_mov_b32_e32 v4, s8
	v_mov_b32_e32 v5, s9
	v_mov_b32_e32 v6, s10
	v_mov_b32_e32 v7, s11
	ds_write_b128 v0, v[4:7] offset:1792
	v_mov_b32_e32 v4, s12
	v_mov_b32_e32 v5, s13
	v_mov_b32_e32 v6, s14
	v_mov_b32_e32 v7, s15
	ds_write_b128 v0, v[4:7] offset:1808
	v_mov_b32_e32 v4, s16
	v_mov_b32_e32 v5, s17
	v_mov_b32_e32 v6, s18
	v_mov_b32_e32 v7, s19
	ds_write_b128 v0, v[4:7] offset:1824
	v_mov_b32_e32 v4, s20
	v_mov_b32_e32 v5, s21
	v_mov_b32_e32 v6, s22
	v_mov_b32_e32 v7, s23
	s_load_dwordx16 s[8:23], s[24:25], 0x780
	ds_write_b128 v0, v[4:7] offset:1840
	s_waitcnt lgkmcnt(0)
	v_mov_b32_e32 v4, s36
	v_mov_b32_e32 v5, s37
	v_mov_b32_e32 v6, s38
	v_mov_b32_e32 v7, s39
	ds_write_b128 v0, v[4:7] offset:1856
	v_mov_b32_e32 v4, s40
	v_mov_b32_e32 v5, s41
	v_mov_b32_e32 v6, s42
	v_mov_b32_e32 v7, s43
	ds_write_b128 v0, v[4:7] offset:1872
	v_mov_b32_e32 v4, s44
	v_mov_b32_e32 v5, s45
	v_mov_b32_e32 v6, s46
	v_mov_b32_e32 v7, s47
	ds_write_b128 v0, v[4:7] offset:1888
	v_mov_b32_e32 v4, s48
	v_mov_b32_e32 v5, s49
	v_mov_b32_e32 v6, s50
	v_mov_b32_e32 v7, s51
	s_load_dwordx16 s[36:51], s[24:25], 0x7c0
	ds_write_b128 v0, v[4:7] offset:1904
	v_mov_b32_e32 v4, s8
	v_mov_b32_e32 v5, s9
	v_mov_b32_e32 v6, s10
	v_mov_b32_e32 v7, s11
	ds_write_b128 v0, v[4:7] offset:1920
	v_mov_b32_e32 v4, s12
	v_mov_b32_e32 v5, s13
	v_mov_b32_e32 v6, s14
	v_mov_b32_e32 v7, s15
	ds_write_b128 v0, v[4:7] offset:1936
	v_mov_b32_e32 v4, s16
	v_mov_b32_e32 v5, s17
	v_mov_b32_e32 v6, s18
	v_mov_b32_e32 v7, s19
	ds_write_b128 v0, v[4:7] offset:1952
	v_mov_b32_e32 v4, s20
	v_mov_b32_e32 v5, s21
	v_mov_b32_e32 v6, s22
	v_mov_b32_e32 v7, s23
	s_load_dwordx16 s[8:23], s[24:25], 0x800
	ds_write_b128 v0, v[4:7] offset:1968
	s_waitcnt lgkmcnt(0)
	v_mov_b32_e32 v4, s36
	v_mov_b32_e32 v5, s37
	v_mov_b32_e32 v6, s38
	v_mov_b32_e32 v7, s39
	ds_write_b128 v0, v[4:7] offset:1984
	v_mov_b32_e32 v4, s40
	v_mov_b32_e32 v5, s41
	v_mov_b32_e32 v6, s42
	v_mov_b32_e32 v7, s43
	ds_write_b128 v0, v[4:7] offset:2000
	v_mov_b32_e32 v4, s44
	v_mov_b32_e32 v5, s45
	v_mov_b32_e32 v6, s46
	v_mov_b32_e32 v7, s47
	ds_write_b128 v0, v[4:7] offset:2016
	v_mov_b32_e32 v4, s48
	v_mov_b32_e32 v5, s49
	v_mov_b32_e32 v6, s50
	v_mov_b32_e32 v7, s51
	s_load_dwordx16 s[36:51], s[24:25], 0x840
	ds_write_b128 v0, v[4:7] offset:2032
	v_mov_b32_e32 v4, s8
	v_mov_b32_e32 v5, s9
	v_mov_b32_e32 v6, s10
	v_mov_b32_e32 v7, s11
	ds_write_b128 v0, v[4:7] offset:2048
	v_mov_b32_e32 v4, s12
	v_mov_b32_e32 v5, s13
	v_mov_b32_e32 v6, s14
	v_mov_b32_e32 v7, s15
	ds_write_b128 v0, v[4:7] offset:2064
	v_mov_b32_e32 v4, s16
	v_mov_b32_e32 v5, s17
	v_mov_b32_e32 v6, s18
	v_mov_b32_e32 v7, s19
	ds_write_b128 v0, v[4:7] offset:2080
	v_mov_b32_e32 v4, s20
	v_mov_b32_e32 v5, s21
	v_mov_b32_e32 v6, s22
	v_mov_b32_e32 v7, s23
	s_load_dwordx16 s[8:23], s[24:25], 0x880
	ds_write_b128 v0, v[4:7] offset:2096
	s_waitcnt lgkmcnt(0)
	v_mov_b32_e32 v4, s36
	v_mov_b32_e32 v5, s37
	v_mov_b32_e32 v6, s38
	v_mov_b32_e32 v7, s39
	ds_write_b128 v0, v[4:7] offset:2112
	v_mov_b32_e32 v4, s40
	v_mov_b32_e32 v5, s41
	v_mov_b32_e32 v6, s42
	v_mov_b32_e32 v7, s43
	ds_write_b128 v0, v[4:7] offset:2128
	v_mov_b32_e32 v4, s44
	v_mov_b32_e32 v5, s45
	v_mov_b32_e32 v6, s46
	v_mov_b32_e32 v7, s47
	ds_write_b128 v0, v[4:7] offset:2144
	v_mov_b32_e32 v4, s48
	v_mov_b32_e32 v5, s49
	v_mov_b32_e32 v6, s50
	v_mov_b32_e32 v7, s51
	s_load_dwordx16 s[36:51], s[24:25], 0x8c0
	ds_write_b128 v0, v[4:7] offset:2160
	v_mov_b32_e32 v4, s8
	v_mov_b32_e32 v5, s9
	v_mov_b32_e32 v6, s10
	v_mov_b32_e32 v7, s11
	ds_write_b128 v0, v[4:7] offset:2176
	v_mov_b32_e32 v4, s12
	v_mov_b32_e32 v5, s13
	v_mov_b32_e32 v6, s14
	v_mov_b32_e32 v7, s15
	ds_write_b128 v0, v[4:7] offset:2192
	v_mov_b32_e32 v4, s16
	v_mov_b32_e32 v5, s17
	v_mov_b32_e32 v6, s18
	v_mov_b32_e32 v7, s19
	ds_write_b128 v0, v[4:7] offset:2208
	v_mov_b32_e32 v4, s20
	v_mov_b32_e32 v5, s21
	v_mov_b32_e32 v6, s22
	v_mov_b32_e32 v7, s23
	s_load_dwordx16 s[8:23], s[24:25], 0x900
	ds_write_b128 v0, v[4:7] offset:2224
	s_waitcnt lgkmcnt(0)
	v_mov_b32_e32 v4, s36
	v_mov_b32_e32 v5, s37
	v_mov_b32_e32 v6, s38
	v_mov_b32_e32 v7, s39
	ds_write_b128 v0, v[4:7] offset:2240
	v_mov_b32_e32 v4, s40
	v_mov_b32_e32 v5, s41
	v_mov_b32_e32 v6, s42
	v_mov_b32_e32 v7, s43
	ds_write_b128 v0, v[4:7] offset:2256
	v_mov_b32_e32 v4, s44
	v_mov_b32_e32 v5, s45
	v_mov_b32_e32 v6, s46
	v_mov_b32_e32 v7, s47
	ds_write_b128 v0, v[4:7] offset:2272
	v_mov_b32_e32 v4, s48
	v_mov_b32_e32 v5, s49
	v_mov_b32_e32 v6, s50
	v_mov_b32_e32 v7, s51
	s_load_dwordx16 s[36:51], s[24:25], 0x940
	ds_write_b128 v0, v[4:7] offset:2288
	v_mov_b32_e32 v4, s8
	v_mov_b32_e32 v5, s9
	v_mov_b32_e32 v6, s10
	v_mov_b32_e32 v7, s11
	ds_write_b128 v0, v[4:7] offset:2304
	v_mov_b32_e32 v4, s12
	v_mov_b32_e32 v5, s13
	v_mov_b32_e32 v6, s14
	v_mov_b32_e32 v7, s15
	ds_write_b128 v0, v[4:7] offset:2320
	v_mov_b32_e32 v4, s16
	v_mov_b32_e32 v5, s17
	v_mov_b32_e32 v6, s18
	v_mov_b32_e32 v7, s19
	ds_write_b128 v0, v[4:7] offset:2336
	v_mov_b32_e32 v4, s20
	v_mov_b32_e32 v5, s21
	v_mov_b32_e32 v6, s22
	v_mov_b32_e32 v7, s23
	s_load_dwordx16 s[8:23], s[24:25], 0x980
	ds_write_b128 v0, v[4:7] offset:2352
	s_waitcnt lgkmcnt(0)
	v_mov_b32_e32 v4, s36
	v_mov_b32_e32 v5, s37
	v_mov_b32_e32 v6, s38
	v_mov_b32_e32 v7, s39
	ds_write_b128 v0, v[4:7] offset:2368
	v_mov_b32_e32 v4, s40
	v_mov_b32_e32 v5, s41
	v_mov_b32_e32 v6, s42
	v_mov_b32_e32 v7, s43
	ds_write_b128 v0, v[4:7] offset:2384
	v_mov_b32_e32 v4, s44
	v_mov_b32_e32 v5, s45
	v_mov_b32_e32 v6, s46
	v_mov_b32_e32 v7, s47
	ds_write_b128 v0, v[4:7] offset:2400
	v_mov_b32_e32 v4, s48
	v_mov_b32_e32 v5, s49
	v_mov_b32_e32 v6, s50
	v_mov_b32_e32 v7, s51
	s_load_dwordx16 s[36:51], s[24:25], 0x9c0
	ds_write_b128 v0, v[4:7] offset:2416
	v_mov_b32_e32 v4, s8
	v_mov_b32_e32 v5, s9
	v_mov_b32_e32 v6, s10
	v_mov_b32_e32 v7, s11
	ds_write_b128 v0, v[4:7] offset:2432
	v_mov_b32_e32 v4, s12
	v_mov_b32_e32 v5, s13
	v_mov_b32_e32 v6, s14
	v_mov_b32_e32 v7, s15
	ds_write_b128 v0, v[4:7] offset:2448
	v_mov_b32_e32 v4, s16
	v_mov_b32_e32 v5, s17
	v_mov_b32_e32 v6, s18
	v_mov_b32_e32 v7, s19
	ds_write_b128 v0, v[4:7] offset:2464
	v_mov_b32_e32 v4, s20
	v_mov_b32_e32 v5, s21
	v_mov_b32_e32 v6, s22
	v_mov_b32_e32 v7, s23
	s_load_dwordx16 s[8:23], s[24:25], 0xa00
	ds_write_b128 v0, v[4:7] offset:2480
	s_waitcnt lgkmcnt(0)
	v_mov_b32_e32 v4, s36
	v_mov_b32_e32 v5, s37
	v_mov_b32_e32 v6, s38
	v_mov_b32_e32 v7, s39
	ds_write_b128 v0, v[4:7] offset:2496
	v_mov_b32_e32 v4, s40
	v_mov_b32_e32 v5, s41
	v_mov_b32_e32 v6, s42
	v_mov_b32_e32 v7, s43
	ds_write_b128 v0, v[4:7] offset:2512
	v_mov_b32_e32 v4, s44
	v_mov_b32_e32 v5, s45
	v_mov_b32_e32 v6, s46
	v_mov_b32_e32 v7, s47
	ds_write_b128 v0, v[4:7] offset:2528
	v_mov_b32_e32 v4, s48
	v_mov_b32_e32 v5, s49
	v_mov_b32_e32 v6, s50
	v_mov_b32_e32 v7, s51
	s_load_dwordx16 s[36:51], s[24:25], 0xa40
	ds_write_b128 v0, v[4:7] offset:2544
	v_mov_b32_e32 v4, s8
	v_mov_b32_e32 v5, s9
	v_mov_b32_e32 v6, s10
	v_mov_b32_e32 v7, s11
	ds_write_b128 v0, v[4:7] offset:2560
	v_mov_b32_e32 v4, s12
	v_mov_b32_e32 v5, s13
	v_mov_b32_e32 v6, s14
	v_mov_b32_e32 v7, s15
	ds_write_b128 v0, v[4:7] offset:2576
	v_mov_b32_e32 v4, s16
	v_mov_b32_e32 v5, s17
	;; [unrolled: 1-line block ×4, first 2 shown]
	ds_write_b128 v0, v[4:7] offset:2592
	v_mov_b32_e32 v4, s20
	v_mov_b32_e32 v5, s21
	;; [unrolled: 1-line block ×4, first 2 shown]
	s_load_dwordx4 s[8:11], s[24:25], 0xa80
	ds_write_b128 v0, v[4:7] offset:2608
	s_waitcnt lgkmcnt(0)
	v_mov_b32_e32 v4, s36
	v_mov_b32_e32 v5, s37
	v_mov_b32_e32 v6, s38
	v_mov_b32_e32 v7, s39
	ds_write_b128 v0, v[4:7] offset:2624
	v_mov_b32_e32 v4, s40
	v_mov_b32_e32 v5, s41
	v_mov_b32_e32 v6, s42
	v_mov_b32_e32 v7, s43
	ds_write_b128 v0, v[4:7] offset:2640
	;; [unrolled: 5-line block ×4, first 2 shown]
	v_pk_mov_b32 v[4:5], s[8:9], s[8:9] op_sel:[0,1]
	v_pk_mov_b32 v[6:7], s[10:11], s[10:11] op_sel:[0,1]
	ds_write_b128 v0, v[4:7] offset:2688
.LBB1_2:
	s_or_b64 exec, exec, s[6:7]
	v_mov_b32_e32 v0, 1
	s_waitcnt lgkmcnt(0)
	s_barrier
	buffer_store_dword v0, off, s[0:3], 0 offset:1828
	v_mov_b32_e32 v0, 3
	buffer_store_dword v0, off, s[0:3], 0 offset:1836
	v_mov_b32_e32 v0, 2
	;; [unrolled: 2-line block ×25, first 2 shown]
	s_mov_b32 s8, 0x1984a2d
	buffer_store_dword v0, off, s[0:3], 0 offset:1932
	s_waitcnt vmcnt(26)
	v_mad_u64_u32 v[0:1], s[6:7], v1, s8, 1
	v_and_b32_e32 v1, 0x7fffffff, v0
	v_cvt_f32_u32_e32 v1, v1
	v_mov_b32_e32 v4, 26
	buffer_store_dword v4, off, s[0:3], 0 offset:1928
	v_mov_b32_e32 v4, 29
	v_mul_f32_e32 v1, 0x30000000, v1
	v_mul_f32_e32 v1, 0x41f00000, v1
	v_cvt_i32_f32_e32 v1, v1
	v_mov_b32_e32 v3, 0
	buffer_store_dword v4, off, s[0:3], 0 offset:1940
	v_mov_b32_e32 v4, 28
	v_cmp_ne_u32_e32 vcc, 0, v1
	buffer_store_dword v3, off, s[0:3], 0 offset:1824
	buffer_store_dword v4, off, s[0:3], 0 offset:1936
	s_and_saveexec_b64 s[6:7], vcc
	s_cbranch_execz .LBB1_4
; %bb.3:
	v_mov_b32_e32 v4, 0x720
	v_lshl_add_u32 v1, v1, 2, v4
	buffer_load_dword v4, v1, s[0:3], 0 offen
	s_nop 0
	buffer_store_dword v3, v1, s[0:3], 0 offen
	s_waitcnt vmcnt(1)
	buffer_store_dword v4, off, s[0:3], 0 offset:1824
.LBB1_4:
	s_or_b64 exec, exec, s[6:7]
	v_mad_u64_u32 v[0:1], s[6:7], v0, s8, 1
	v_and_b32_e32 v1, 0x7fffffff, v0
	v_cvt_f32_u32_e32 v1, v1
	v_mul_f32_e32 v1, 0x30000000, v1
	v_mul_f32_e32 v1, 0x41f00000, v1
	v_cvt_i32_f32_e32 v1, v1
	v_cmp_ne_u32_e32 vcc, 1, v1
	s_and_saveexec_b64 s[6:7], vcc
	s_cbranch_execz .LBB1_6
; %bb.5:
	v_mov_b32_e32 v3, 0x720
	v_lshl_add_u32 v1, v1, 2, v3
	buffer_load_dword v3, v1, s[0:3], 0 offen
	buffer_load_dword v4, off, s[0:3], 0 offset:1828
	s_waitcnt vmcnt(0)
	v_sub_u32_e32 v3, v4, v3
	buffer_store_dword v3, off, s[0:3], 0 offset:1828
	buffer_load_dword v4, v1, s[0:3], 0 offen
	s_waitcnt vmcnt(0)
	v_add_u32_e32 v3, v4, v3
	buffer_store_dword v3, v1, s[0:3], 0 offen
	buffer_load_dword v1, off, s[0:3], 0 offset:1828
	s_waitcnt vmcnt(0)
	v_sub_u32_e32 v1, v3, v1
	buffer_store_dword v1, off, s[0:3], 0 offset:1828
.LBB1_6:
	s_or_b64 exec, exec, s[6:7]
	v_mad_u64_u32 v[0:1], s[6:7], v0, s8, 1
	v_and_b32_e32 v1, 0x7fffffff, v0
	v_cvt_f32_u32_e32 v1, v1
	v_mul_f32_e32 v1, 0x30000000, v1
	v_mul_f32_e32 v1, 0x41f00000, v1
	v_cvt_i32_f32_e32 v1, v1
	v_cmp_ne_u32_e32 vcc, 2, v1
	s_and_saveexec_b64 s[6:7], vcc
	s_cbranch_execz .LBB1_8
; %bb.7:
	v_mov_b32_e32 v3, 0x720
	v_lshl_add_u32 v1, v1, 2, v3
	buffer_load_dword v3, v1, s[0:3], 0 offen
	buffer_load_dword v4, off, s[0:3], 0 offset:1832
	s_waitcnt vmcnt(0)
	v_sub_u32_e32 v3, v4, v3
	buffer_store_dword v3, off, s[0:3], 0 offset:1832
	buffer_load_dword v4, v1, s[0:3], 0 offen
	s_waitcnt vmcnt(0)
	v_add_u32_e32 v3, v4, v3
	buffer_store_dword v3, v1, s[0:3], 0 offen
	buffer_load_dword v1, off, s[0:3], 0 offset:1832
	s_waitcnt vmcnt(0)
	v_sub_u32_e32 v1, v3, v1
	buffer_store_dword v1, off, s[0:3], 0 offset:1832
.LBB1_8:
	s_or_b64 exec, exec, s[6:7]
	v_mad_u64_u32 v[0:1], s[6:7], v0, s8, 1
	v_and_b32_e32 v1, 0x7fffffff, v0
	v_cvt_f32_u32_e32 v1, v1
	v_mul_f32_e32 v1, 0x30000000, v1
	v_mul_f32_e32 v1, 0x41f00000, v1
	v_cvt_i32_f32_e32 v1, v1
	v_cmp_ne_u32_e32 vcc, 3, v1
	s_and_saveexec_b64 s[6:7], vcc
	s_cbranch_execz .LBB1_10
; %bb.9:
	v_mov_b32_e32 v3, 0x720
	v_lshl_add_u32 v1, v1, 2, v3
	buffer_load_dword v3, v1, s[0:3], 0 offen
	buffer_load_dword v4, off, s[0:3], 0 offset:1836
	s_waitcnt vmcnt(0)
	v_sub_u32_e32 v3, v4, v3
	buffer_store_dword v3, off, s[0:3], 0 offset:1836
	buffer_load_dword v4, v1, s[0:3], 0 offen
	s_waitcnt vmcnt(0)
	v_add_u32_e32 v3, v4, v3
	buffer_store_dword v3, v1, s[0:3], 0 offen
	buffer_load_dword v1, off, s[0:3], 0 offset:1836
	s_waitcnt vmcnt(0)
	v_sub_u32_e32 v1, v3, v1
	buffer_store_dword v1, off, s[0:3], 0 offset:1836
.LBB1_10:
	s_or_b64 exec, exec, s[6:7]
	v_mad_u64_u32 v[0:1], s[6:7], v0, s8, 1
	v_and_b32_e32 v1, 0x7fffffff, v0
	v_cvt_f32_u32_e32 v1, v1
	v_mul_f32_e32 v1, 0x30000000, v1
	v_mul_f32_e32 v1, 0x41f00000, v1
	v_cvt_i32_f32_e32 v1, v1
	v_cmp_ne_u32_e32 vcc, 4, v1
	s_and_saveexec_b64 s[6:7], vcc
	s_cbranch_execz .LBB1_12
; %bb.11:
	v_mov_b32_e32 v3, 0x720
	v_lshl_add_u32 v1, v1, 2, v3
	buffer_load_dword v3, v1, s[0:3], 0 offen
	buffer_load_dword v4, off, s[0:3], 0 offset:1840
	s_waitcnt vmcnt(0)
	v_sub_u32_e32 v3, v4, v3
	buffer_store_dword v3, off, s[0:3], 0 offset:1840
	buffer_load_dword v4, v1, s[0:3], 0 offen
	s_waitcnt vmcnt(0)
	v_add_u32_e32 v3, v4, v3
	buffer_store_dword v3, v1, s[0:3], 0 offen
	buffer_load_dword v1, off, s[0:3], 0 offset:1840
	s_waitcnt vmcnt(0)
	v_sub_u32_e32 v1, v3, v1
	buffer_store_dword v1, off, s[0:3], 0 offset:1840
.LBB1_12:
	s_or_b64 exec, exec, s[6:7]
	v_mad_u64_u32 v[0:1], s[6:7], v0, s8, 1
	v_and_b32_e32 v1, 0x7fffffff, v0
	v_cvt_f32_u32_e32 v1, v1
	v_mul_f32_e32 v1, 0x30000000, v1
	v_mul_f32_e32 v1, 0x41f00000, v1
	v_cvt_i32_f32_e32 v1, v1
	v_cmp_ne_u32_e32 vcc, 5, v1
	s_and_saveexec_b64 s[6:7], vcc
	s_cbranch_execz .LBB1_14
; %bb.13:
	v_mov_b32_e32 v3, 0x720
	v_lshl_add_u32 v1, v1, 2, v3
	buffer_load_dword v3, v1, s[0:3], 0 offen
	buffer_load_dword v4, off, s[0:3], 0 offset:1844
	s_waitcnt vmcnt(0)
	v_sub_u32_e32 v3, v4, v3
	buffer_store_dword v3, off, s[0:3], 0 offset:1844
	buffer_load_dword v4, v1, s[0:3], 0 offen
	s_waitcnt vmcnt(0)
	v_add_u32_e32 v3, v4, v3
	buffer_store_dword v3, v1, s[0:3], 0 offen
	buffer_load_dword v1, off, s[0:3], 0 offset:1844
	s_waitcnt vmcnt(0)
	v_sub_u32_e32 v1, v3, v1
	buffer_store_dword v1, off, s[0:3], 0 offset:1844
.LBB1_14:
	s_or_b64 exec, exec, s[6:7]
	v_mad_u64_u32 v[0:1], s[6:7], v0, s8, 1
	v_and_b32_e32 v1, 0x7fffffff, v0
	v_cvt_f32_u32_e32 v1, v1
	v_mul_f32_e32 v1, 0x30000000, v1
	v_mul_f32_e32 v1, 0x41f00000, v1
	v_cvt_i32_f32_e32 v1, v1
	v_cmp_ne_u32_e32 vcc, 6, v1
	s_and_saveexec_b64 s[6:7], vcc
	s_cbranch_execz .LBB1_16
; %bb.15:
	v_mov_b32_e32 v3, 0x720
	v_lshl_add_u32 v1, v1, 2, v3
	buffer_load_dword v3, v1, s[0:3], 0 offen
	buffer_load_dword v4, off, s[0:3], 0 offset:1848
	s_waitcnt vmcnt(0)
	v_sub_u32_e32 v3, v4, v3
	buffer_store_dword v3, off, s[0:3], 0 offset:1848
	buffer_load_dword v4, v1, s[0:3], 0 offen
	s_waitcnt vmcnt(0)
	v_add_u32_e32 v3, v4, v3
	buffer_store_dword v3, v1, s[0:3], 0 offen
	buffer_load_dword v1, off, s[0:3], 0 offset:1848
	s_waitcnt vmcnt(0)
	v_sub_u32_e32 v1, v3, v1
	buffer_store_dword v1, off, s[0:3], 0 offset:1848
.LBB1_16:
	s_or_b64 exec, exec, s[6:7]
	v_mad_u64_u32 v[0:1], s[6:7], v0, s8, 1
	v_and_b32_e32 v1, 0x7fffffff, v0
	v_cvt_f32_u32_e32 v1, v1
	v_mul_f32_e32 v1, 0x30000000, v1
	v_mul_f32_e32 v1, 0x41f00000, v1
	v_cvt_i32_f32_e32 v1, v1
	v_cmp_ne_u32_e32 vcc, 7, v1
	s_and_saveexec_b64 s[6:7], vcc
	s_cbranch_execz .LBB1_18
; %bb.17:
	v_mov_b32_e32 v3, 0x720
	v_lshl_add_u32 v1, v1, 2, v3
	buffer_load_dword v3, v1, s[0:3], 0 offen
	buffer_load_dword v4, off, s[0:3], 0 offset:1852
	s_waitcnt vmcnt(0)
	v_sub_u32_e32 v3, v4, v3
	buffer_store_dword v3, off, s[0:3], 0 offset:1852
	buffer_load_dword v4, v1, s[0:3], 0 offen
	s_waitcnt vmcnt(0)
	v_add_u32_e32 v3, v4, v3
	buffer_store_dword v3, v1, s[0:3], 0 offen
	buffer_load_dword v1, off, s[0:3], 0 offset:1852
	s_waitcnt vmcnt(0)
	v_sub_u32_e32 v1, v3, v1
	buffer_store_dword v1, off, s[0:3], 0 offset:1852
.LBB1_18:
	s_or_b64 exec, exec, s[6:7]
	v_mad_u64_u32 v[0:1], s[6:7], v0, s8, 1
	v_and_b32_e32 v1, 0x7fffffff, v0
	v_cvt_f32_u32_e32 v1, v1
	v_mul_f32_e32 v1, 0x30000000, v1
	v_mul_f32_e32 v1, 0x41f00000, v1
	v_cvt_i32_f32_e32 v1, v1
	v_cmp_ne_u32_e32 vcc, 8, v1
	s_and_saveexec_b64 s[6:7], vcc
	s_cbranch_execz .LBB1_20
; %bb.19:
	v_mov_b32_e32 v3, 0x720
	v_lshl_add_u32 v1, v1, 2, v3
	buffer_load_dword v3, v1, s[0:3], 0 offen
	buffer_load_dword v4, off, s[0:3], 0 offset:1856
	s_waitcnt vmcnt(0)
	v_sub_u32_e32 v3, v4, v3
	buffer_store_dword v3, off, s[0:3], 0 offset:1856
	buffer_load_dword v4, v1, s[0:3], 0 offen
	s_waitcnt vmcnt(0)
	v_add_u32_e32 v3, v4, v3
	buffer_store_dword v3, v1, s[0:3], 0 offen
	buffer_load_dword v1, off, s[0:3], 0 offset:1856
	s_waitcnt vmcnt(0)
	v_sub_u32_e32 v1, v3, v1
	buffer_store_dword v1, off, s[0:3], 0 offset:1856
.LBB1_20:
	s_or_b64 exec, exec, s[6:7]
	v_mad_u64_u32 v[0:1], s[6:7], v0, s8, 1
	v_and_b32_e32 v1, 0x7fffffff, v0
	v_cvt_f32_u32_e32 v1, v1
	v_mul_f32_e32 v1, 0x30000000, v1
	v_mul_f32_e32 v1, 0x41f00000, v1
	v_cvt_i32_f32_e32 v1, v1
	v_cmp_ne_u32_e32 vcc, 9, v1
	s_and_saveexec_b64 s[6:7], vcc
	s_cbranch_execz .LBB1_22
; %bb.21:
	v_mov_b32_e32 v3, 0x720
	v_lshl_add_u32 v1, v1, 2, v3
	buffer_load_dword v3, v1, s[0:3], 0 offen
	buffer_load_dword v4, off, s[0:3], 0 offset:1860
	s_waitcnt vmcnt(0)
	v_sub_u32_e32 v3, v4, v3
	buffer_store_dword v3, off, s[0:3], 0 offset:1860
	buffer_load_dword v4, v1, s[0:3], 0 offen
	s_waitcnt vmcnt(0)
	v_add_u32_e32 v3, v4, v3
	buffer_store_dword v3, v1, s[0:3], 0 offen
	buffer_load_dword v1, off, s[0:3], 0 offset:1860
	s_waitcnt vmcnt(0)
	v_sub_u32_e32 v1, v3, v1
	buffer_store_dword v1, off, s[0:3], 0 offset:1860
.LBB1_22:
	s_or_b64 exec, exec, s[6:7]
	v_mad_u64_u32 v[0:1], s[6:7], v0, s8, 1
	v_and_b32_e32 v1, 0x7fffffff, v0
	v_cvt_f32_u32_e32 v1, v1
	v_mul_f32_e32 v1, 0x30000000, v1
	v_mul_f32_e32 v1, 0x41f00000, v1
	v_cvt_i32_f32_e32 v1, v1
	v_cmp_ne_u32_e32 vcc, 10, v1
	s_and_saveexec_b64 s[6:7], vcc
	s_cbranch_execz .LBB1_24
; %bb.23:
	v_mov_b32_e32 v3, 0x720
	v_lshl_add_u32 v1, v1, 2, v3
	buffer_load_dword v3, v1, s[0:3], 0 offen
	buffer_load_dword v4, off, s[0:3], 0 offset:1864
	s_waitcnt vmcnt(0)
	v_sub_u32_e32 v3, v4, v3
	buffer_store_dword v3, off, s[0:3], 0 offset:1864
	buffer_load_dword v4, v1, s[0:3], 0 offen
	s_waitcnt vmcnt(0)
	v_add_u32_e32 v3, v4, v3
	buffer_store_dword v3, v1, s[0:3], 0 offen
	buffer_load_dword v1, off, s[0:3], 0 offset:1864
	s_waitcnt vmcnt(0)
	v_sub_u32_e32 v1, v3, v1
	buffer_store_dword v1, off, s[0:3], 0 offset:1864
.LBB1_24:
	s_or_b64 exec, exec, s[6:7]
	v_mad_u64_u32 v[0:1], s[6:7], v0, s8, 1
	v_and_b32_e32 v1, 0x7fffffff, v0
	v_cvt_f32_u32_e32 v1, v1
	v_mul_f32_e32 v1, 0x30000000, v1
	v_mul_f32_e32 v1, 0x41f00000, v1
	v_cvt_i32_f32_e32 v1, v1
	v_cmp_ne_u32_e32 vcc, 11, v1
	s_and_saveexec_b64 s[6:7], vcc
	s_cbranch_execz .LBB1_26
; %bb.25:
	v_mov_b32_e32 v3, 0x720
	v_lshl_add_u32 v1, v1, 2, v3
	buffer_load_dword v3, v1, s[0:3], 0 offen
	buffer_load_dword v4, off, s[0:3], 0 offset:1868
	s_waitcnt vmcnt(0)
	v_sub_u32_e32 v3, v4, v3
	buffer_store_dword v3, off, s[0:3], 0 offset:1868
	buffer_load_dword v4, v1, s[0:3], 0 offen
	s_waitcnt vmcnt(0)
	v_add_u32_e32 v3, v4, v3
	buffer_store_dword v3, v1, s[0:3], 0 offen
	buffer_load_dword v1, off, s[0:3], 0 offset:1868
	s_waitcnt vmcnt(0)
	v_sub_u32_e32 v1, v3, v1
	buffer_store_dword v1, off, s[0:3], 0 offset:1868
.LBB1_26:
	s_or_b64 exec, exec, s[6:7]
	v_mad_u64_u32 v[0:1], s[6:7], v0, s8, 1
	v_and_b32_e32 v1, 0x7fffffff, v0
	v_cvt_f32_u32_e32 v1, v1
	v_mul_f32_e32 v1, 0x30000000, v1
	v_mul_f32_e32 v1, 0x41f00000, v1
	v_cvt_i32_f32_e32 v1, v1
	v_cmp_ne_u32_e32 vcc, 12, v1
	s_and_saveexec_b64 s[6:7], vcc
	s_cbranch_execz .LBB1_28
; %bb.27:
	v_mov_b32_e32 v3, 0x720
	v_lshl_add_u32 v1, v1, 2, v3
	buffer_load_dword v3, v1, s[0:3], 0 offen
	buffer_load_dword v4, off, s[0:3], 0 offset:1872
	s_waitcnt vmcnt(0)
	v_sub_u32_e32 v3, v4, v3
	buffer_store_dword v3, off, s[0:3], 0 offset:1872
	buffer_load_dword v4, v1, s[0:3], 0 offen
	s_waitcnt vmcnt(0)
	v_add_u32_e32 v3, v4, v3
	buffer_store_dword v3, v1, s[0:3], 0 offen
	buffer_load_dword v1, off, s[0:3], 0 offset:1872
	s_waitcnt vmcnt(0)
	v_sub_u32_e32 v1, v3, v1
	buffer_store_dword v1, off, s[0:3], 0 offset:1872
.LBB1_28:
	s_or_b64 exec, exec, s[6:7]
	v_mad_u64_u32 v[0:1], s[6:7], v0, s8, 1
	v_and_b32_e32 v1, 0x7fffffff, v0
	v_cvt_f32_u32_e32 v1, v1
	v_mul_f32_e32 v1, 0x30000000, v1
	v_mul_f32_e32 v1, 0x41f00000, v1
	v_cvt_i32_f32_e32 v1, v1
	v_cmp_ne_u32_e32 vcc, 13, v1
	s_and_saveexec_b64 s[6:7], vcc
	s_cbranch_execz .LBB1_30
; %bb.29:
	v_mov_b32_e32 v3, 0x720
	v_lshl_add_u32 v1, v1, 2, v3
	buffer_load_dword v3, v1, s[0:3], 0 offen
	buffer_load_dword v4, off, s[0:3], 0 offset:1876
	s_waitcnt vmcnt(0)
	v_sub_u32_e32 v3, v4, v3
	buffer_store_dword v3, off, s[0:3], 0 offset:1876
	buffer_load_dword v4, v1, s[0:3], 0 offen
	s_waitcnt vmcnt(0)
	v_add_u32_e32 v3, v4, v3
	buffer_store_dword v3, v1, s[0:3], 0 offen
	buffer_load_dword v1, off, s[0:3], 0 offset:1876
	s_waitcnt vmcnt(0)
	v_sub_u32_e32 v1, v3, v1
	buffer_store_dword v1, off, s[0:3], 0 offset:1876
.LBB1_30:
	s_or_b64 exec, exec, s[6:7]
	v_mad_u64_u32 v[0:1], s[6:7], v0, s8, 1
	v_and_b32_e32 v1, 0x7fffffff, v0
	v_cvt_f32_u32_e32 v1, v1
	v_mul_f32_e32 v1, 0x30000000, v1
	v_mul_f32_e32 v1, 0x41f00000, v1
	v_cvt_i32_f32_e32 v1, v1
	v_cmp_ne_u32_e32 vcc, 14, v1
	s_and_saveexec_b64 s[6:7], vcc
	s_cbranch_execz .LBB1_32
; %bb.31:
	v_mov_b32_e32 v3, 0x720
	v_lshl_add_u32 v1, v1, 2, v3
	buffer_load_dword v3, v1, s[0:3], 0 offen
	buffer_load_dword v4, off, s[0:3], 0 offset:1880
	s_waitcnt vmcnt(0)
	v_sub_u32_e32 v3, v4, v3
	buffer_store_dword v3, off, s[0:3], 0 offset:1880
	buffer_load_dword v4, v1, s[0:3], 0 offen
	s_waitcnt vmcnt(0)
	v_add_u32_e32 v3, v4, v3
	buffer_store_dword v3, v1, s[0:3], 0 offen
	buffer_load_dword v1, off, s[0:3], 0 offset:1880
	s_waitcnt vmcnt(0)
	v_sub_u32_e32 v1, v3, v1
	buffer_store_dword v1, off, s[0:3], 0 offset:1880
.LBB1_32:
	s_or_b64 exec, exec, s[6:7]
	v_mad_u64_u32 v[0:1], s[6:7], v0, s8, 1
	v_and_b32_e32 v1, 0x7fffffff, v0
	v_cvt_f32_u32_e32 v1, v1
	v_mul_f32_e32 v1, 0x30000000, v1
	v_mul_f32_e32 v1, 0x41f00000, v1
	v_cvt_i32_f32_e32 v1, v1
	v_cmp_ne_u32_e32 vcc, 15, v1
	s_and_saveexec_b64 s[6:7], vcc
	s_cbranch_execz .LBB1_34
; %bb.33:
	v_mov_b32_e32 v3, 0x720
	v_lshl_add_u32 v1, v1, 2, v3
	buffer_load_dword v3, v1, s[0:3], 0 offen
	buffer_load_dword v4, off, s[0:3], 0 offset:1884
	s_waitcnt vmcnt(0)
	v_sub_u32_e32 v3, v4, v3
	buffer_store_dword v3, off, s[0:3], 0 offset:1884
	buffer_load_dword v4, v1, s[0:3], 0 offen
	s_waitcnt vmcnt(0)
	v_add_u32_e32 v3, v4, v3
	buffer_store_dword v3, v1, s[0:3], 0 offen
	buffer_load_dword v1, off, s[0:3], 0 offset:1884
	s_waitcnt vmcnt(0)
	v_sub_u32_e32 v1, v3, v1
	buffer_store_dword v1, off, s[0:3], 0 offset:1884
.LBB1_34:
	s_or_b64 exec, exec, s[6:7]
	v_mad_u64_u32 v[0:1], s[6:7], v0, s8, 1
	v_and_b32_e32 v1, 0x7fffffff, v0
	v_cvt_f32_u32_e32 v1, v1
	v_mul_f32_e32 v1, 0x30000000, v1
	v_mul_f32_e32 v1, 0x41f00000, v1
	v_cvt_i32_f32_e32 v1, v1
	v_cmp_ne_u32_e32 vcc, 16, v1
	s_and_saveexec_b64 s[6:7], vcc
	s_cbranch_execz .LBB1_36
; %bb.35:
	v_mov_b32_e32 v3, 0x720
	v_lshl_add_u32 v1, v1, 2, v3
	buffer_load_dword v3, v1, s[0:3], 0 offen
	buffer_load_dword v4, off, s[0:3], 0 offset:1888
	s_waitcnt vmcnt(0)
	v_sub_u32_e32 v3, v4, v3
	buffer_store_dword v3, off, s[0:3], 0 offset:1888
	buffer_load_dword v4, v1, s[0:3], 0 offen
	s_waitcnt vmcnt(0)
	v_add_u32_e32 v3, v4, v3
	buffer_store_dword v3, v1, s[0:3], 0 offen
	buffer_load_dword v1, off, s[0:3], 0 offset:1888
	s_waitcnt vmcnt(0)
	v_sub_u32_e32 v1, v3, v1
	buffer_store_dword v1, off, s[0:3], 0 offset:1888
.LBB1_36:
	s_or_b64 exec, exec, s[6:7]
	v_mad_u64_u32 v[0:1], s[6:7], v0, s8, 1
	v_and_b32_e32 v1, 0x7fffffff, v0
	v_cvt_f32_u32_e32 v1, v1
	v_mul_f32_e32 v1, 0x30000000, v1
	v_mul_f32_e32 v1, 0x41f00000, v1
	v_cvt_i32_f32_e32 v1, v1
	v_cmp_ne_u32_e32 vcc, 17, v1
	s_and_saveexec_b64 s[6:7], vcc
	s_cbranch_execz .LBB1_38
; %bb.37:
	v_mov_b32_e32 v3, 0x720
	v_lshl_add_u32 v1, v1, 2, v3
	buffer_load_dword v3, v1, s[0:3], 0 offen
	buffer_load_dword v4, off, s[0:3], 0 offset:1892
	s_waitcnt vmcnt(0)
	v_sub_u32_e32 v3, v4, v3
	buffer_store_dword v3, off, s[0:3], 0 offset:1892
	buffer_load_dword v4, v1, s[0:3], 0 offen
	s_waitcnt vmcnt(0)
	v_add_u32_e32 v3, v4, v3
	buffer_store_dword v3, v1, s[0:3], 0 offen
	buffer_load_dword v1, off, s[0:3], 0 offset:1892
	s_waitcnt vmcnt(0)
	v_sub_u32_e32 v1, v3, v1
	buffer_store_dword v1, off, s[0:3], 0 offset:1892
.LBB1_38:
	s_or_b64 exec, exec, s[6:7]
	v_mad_u64_u32 v[0:1], s[6:7], v0, s8, 1
	v_and_b32_e32 v1, 0x7fffffff, v0
	v_cvt_f32_u32_e32 v1, v1
	v_mul_f32_e32 v1, 0x30000000, v1
	v_mul_f32_e32 v1, 0x41f00000, v1
	v_cvt_i32_f32_e32 v1, v1
	v_cmp_ne_u32_e32 vcc, 18, v1
	s_and_saveexec_b64 s[6:7], vcc
	s_cbranch_execz .LBB1_40
; %bb.39:
	v_mov_b32_e32 v3, 0x720
	v_lshl_add_u32 v1, v1, 2, v3
	buffer_load_dword v3, v1, s[0:3], 0 offen
	buffer_load_dword v4, off, s[0:3], 0 offset:1896
	s_waitcnt vmcnt(0)
	v_sub_u32_e32 v3, v4, v3
	buffer_store_dword v3, off, s[0:3], 0 offset:1896
	buffer_load_dword v4, v1, s[0:3], 0 offen
	s_waitcnt vmcnt(0)
	v_add_u32_e32 v3, v4, v3
	buffer_store_dword v3, v1, s[0:3], 0 offen
	buffer_load_dword v1, off, s[0:3], 0 offset:1896
	s_waitcnt vmcnt(0)
	v_sub_u32_e32 v1, v3, v1
	buffer_store_dword v1, off, s[0:3], 0 offset:1896
.LBB1_40:
	s_or_b64 exec, exec, s[6:7]
	v_mad_u64_u32 v[0:1], s[6:7], v0, s8, 1
	v_and_b32_e32 v1, 0x7fffffff, v0
	v_cvt_f32_u32_e32 v1, v1
	v_mul_f32_e32 v1, 0x30000000, v1
	v_mul_f32_e32 v1, 0x41f00000, v1
	v_cvt_i32_f32_e32 v1, v1
	v_cmp_ne_u32_e32 vcc, 19, v1
	s_and_saveexec_b64 s[6:7], vcc
	s_cbranch_execz .LBB1_42
; %bb.41:
	v_mov_b32_e32 v3, 0x720
	v_lshl_add_u32 v1, v1, 2, v3
	buffer_load_dword v3, v1, s[0:3], 0 offen
	buffer_load_dword v4, off, s[0:3], 0 offset:1900
	s_waitcnt vmcnt(0)
	v_sub_u32_e32 v3, v4, v3
	buffer_store_dword v3, off, s[0:3], 0 offset:1900
	buffer_load_dword v4, v1, s[0:3], 0 offen
	s_waitcnt vmcnt(0)
	v_add_u32_e32 v3, v4, v3
	buffer_store_dword v3, v1, s[0:3], 0 offen
	buffer_load_dword v1, off, s[0:3], 0 offset:1900
	s_waitcnt vmcnt(0)
	v_sub_u32_e32 v1, v3, v1
	buffer_store_dword v1, off, s[0:3], 0 offset:1900
.LBB1_42:
	s_or_b64 exec, exec, s[6:7]
	v_mad_u64_u32 v[0:1], s[6:7], v0, s8, 1
	v_and_b32_e32 v1, 0x7fffffff, v0
	v_cvt_f32_u32_e32 v1, v1
	v_mul_f32_e32 v1, 0x30000000, v1
	v_mul_f32_e32 v1, 0x41f00000, v1
	v_cvt_i32_f32_e32 v1, v1
	v_cmp_ne_u32_e32 vcc, 20, v1
	s_and_saveexec_b64 s[6:7], vcc
	s_cbranch_execz .LBB1_44
; %bb.43:
	v_mov_b32_e32 v3, 0x720
	v_lshl_add_u32 v1, v1, 2, v3
	buffer_load_dword v3, v1, s[0:3], 0 offen
	buffer_load_dword v4, off, s[0:3], 0 offset:1904
	s_waitcnt vmcnt(0)
	v_sub_u32_e32 v3, v4, v3
	buffer_store_dword v3, off, s[0:3], 0 offset:1904
	buffer_load_dword v4, v1, s[0:3], 0 offen
	s_waitcnt vmcnt(0)
	v_add_u32_e32 v3, v4, v3
	buffer_store_dword v3, v1, s[0:3], 0 offen
	buffer_load_dword v1, off, s[0:3], 0 offset:1904
	s_waitcnt vmcnt(0)
	v_sub_u32_e32 v1, v3, v1
	buffer_store_dword v1, off, s[0:3], 0 offset:1904
.LBB1_44:
	s_or_b64 exec, exec, s[6:7]
	v_mad_u64_u32 v[0:1], s[6:7], v0, s8, 1
	v_and_b32_e32 v1, 0x7fffffff, v0
	v_cvt_f32_u32_e32 v1, v1
	v_mul_f32_e32 v1, 0x30000000, v1
	v_mul_f32_e32 v1, 0x41f00000, v1
	v_cvt_i32_f32_e32 v1, v1
	v_cmp_ne_u32_e32 vcc, 21, v1
	s_and_saveexec_b64 s[6:7], vcc
	s_cbranch_execz .LBB1_46
; %bb.45:
	v_mov_b32_e32 v3, 0x720
	v_lshl_add_u32 v1, v1, 2, v3
	buffer_load_dword v3, v1, s[0:3], 0 offen
	buffer_load_dword v4, off, s[0:3], 0 offset:1908
	s_waitcnt vmcnt(0)
	v_sub_u32_e32 v3, v4, v3
	buffer_store_dword v3, off, s[0:3], 0 offset:1908
	buffer_load_dword v4, v1, s[0:3], 0 offen
	s_waitcnt vmcnt(0)
	v_add_u32_e32 v3, v4, v3
	buffer_store_dword v3, v1, s[0:3], 0 offen
	buffer_load_dword v1, off, s[0:3], 0 offset:1908
	s_waitcnt vmcnt(0)
	v_sub_u32_e32 v1, v3, v1
	buffer_store_dword v1, off, s[0:3], 0 offset:1908
.LBB1_46:
	s_or_b64 exec, exec, s[6:7]
	v_mad_u64_u32 v[0:1], s[6:7], v0, s8, 1
	v_and_b32_e32 v1, 0x7fffffff, v0
	v_cvt_f32_u32_e32 v1, v1
	v_mul_f32_e32 v1, 0x30000000, v1
	v_mul_f32_e32 v1, 0x41f00000, v1
	v_cvt_i32_f32_e32 v1, v1
	v_cmp_ne_u32_e32 vcc, 22, v1
	s_and_saveexec_b64 s[6:7], vcc
	s_cbranch_execz .LBB1_48
; %bb.47:
	v_mov_b32_e32 v3, 0x720
	v_lshl_add_u32 v1, v1, 2, v3
	buffer_load_dword v3, v1, s[0:3], 0 offen
	buffer_load_dword v4, off, s[0:3], 0 offset:1912
	s_waitcnt vmcnt(0)
	v_sub_u32_e32 v3, v4, v3
	buffer_store_dword v3, off, s[0:3], 0 offset:1912
	buffer_load_dword v4, v1, s[0:3], 0 offen
	s_waitcnt vmcnt(0)
	v_add_u32_e32 v3, v4, v3
	buffer_store_dword v3, v1, s[0:3], 0 offen
	buffer_load_dword v1, off, s[0:3], 0 offset:1912
	s_waitcnt vmcnt(0)
	v_sub_u32_e32 v1, v3, v1
	buffer_store_dword v1, off, s[0:3], 0 offset:1912
.LBB1_48:
	s_or_b64 exec, exec, s[6:7]
	v_mad_u64_u32 v[0:1], s[6:7], v0, s8, 1
	v_and_b32_e32 v1, 0x7fffffff, v0
	v_cvt_f32_u32_e32 v1, v1
	v_mul_f32_e32 v1, 0x30000000, v1
	v_mul_f32_e32 v1, 0x41f00000, v1
	v_cvt_i32_f32_e32 v1, v1
	v_cmp_ne_u32_e32 vcc, 23, v1
	s_and_saveexec_b64 s[6:7], vcc
	s_cbranch_execz .LBB1_50
; %bb.49:
	v_mov_b32_e32 v3, 0x720
	v_lshl_add_u32 v1, v1, 2, v3
	buffer_load_dword v3, v1, s[0:3], 0 offen
	buffer_load_dword v4, off, s[0:3], 0 offset:1916
	s_waitcnt vmcnt(0)
	v_sub_u32_e32 v3, v4, v3
	buffer_store_dword v3, off, s[0:3], 0 offset:1916
	buffer_load_dword v4, v1, s[0:3], 0 offen
	s_waitcnt vmcnt(0)
	v_add_u32_e32 v3, v4, v3
	buffer_store_dword v3, v1, s[0:3], 0 offen
	buffer_load_dword v1, off, s[0:3], 0 offset:1916
	s_waitcnt vmcnt(0)
	v_sub_u32_e32 v1, v3, v1
	buffer_store_dword v1, off, s[0:3], 0 offset:1916
.LBB1_50:
	s_or_b64 exec, exec, s[6:7]
	v_mad_u64_u32 v[0:1], s[6:7], v0, s8, 1
	v_and_b32_e32 v1, 0x7fffffff, v0
	v_cvt_f32_u32_e32 v1, v1
	v_mul_f32_e32 v1, 0x30000000, v1
	v_mul_f32_e32 v1, 0x41f00000, v1
	v_cvt_i32_f32_e32 v1, v1
	v_cmp_ne_u32_e32 vcc, 24, v1
	s_and_saveexec_b64 s[6:7], vcc
	s_cbranch_execz .LBB1_52
; %bb.51:
	v_mov_b32_e32 v3, 0x720
	v_lshl_add_u32 v1, v1, 2, v3
	buffer_load_dword v3, v1, s[0:3], 0 offen
	buffer_load_dword v4, off, s[0:3], 0 offset:1920
	s_waitcnt vmcnt(0)
	v_sub_u32_e32 v3, v4, v3
	buffer_store_dword v3, off, s[0:3], 0 offset:1920
	buffer_load_dword v4, v1, s[0:3], 0 offen
	s_waitcnt vmcnt(0)
	v_add_u32_e32 v3, v4, v3
	buffer_store_dword v3, v1, s[0:3], 0 offen
	buffer_load_dword v1, off, s[0:3], 0 offset:1920
	s_waitcnt vmcnt(0)
	v_sub_u32_e32 v1, v3, v1
	buffer_store_dword v1, off, s[0:3], 0 offset:1920
.LBB1_52:
	s_or_b64 exec, exec, s[6:7]
	v_mad_u64_u32 v[0:1], s[6:7], v0, s8, 1
	v_and_b32_e32 v1, 0x7fffffff, v0
	v_cvt_f32_u32_e32 v1, v1
	v_mul_f32_e32 v1, 0x30000000, v1
	v_mul_f32_e32 v1, 0x41f00000, v1
	v_cvt_i32_f32_e32 v1, v1
	v_cmp_ne_u32_e32 vcc, 25, v1
	s_and_saveexec_b64 s[6:7], vcc
	s_cbranch_execz .LBB1_54
; %bb.53:
	v_mov_b32_e32 v3, 0x720
	v_lshl_add_u32 v1, v1, 2, v3
	buffer_load_dword v3, v1, s[0:3], 0 offen
	buffer_load_dword v4, off, s[0:3], 0 offset:1924
	s_waitcnt vmcnt(0)
	v_sub_u32_e32 v3, v4, v3
	buffer_store_dword v3, off, s[0:3], 0 offset:1924
	buffer_load_dword v4, v1, s[0:3], 0 offen
	s_waitcnt vmcnt(0)
	v_add_u32_e32 v3, v4, v3
	buffer_store_dword v3, v1, s[0:3], 0 offen
	buffer_load_dword v1, off, s[0:3], 0 offset:1924
	s_waitcnt vmcnt(0)
	v_sub_u32_e32 v1, v3, v1
	buffer_store_dword v1, off, s[0:3], 0 offset:1924
.LBB1_54:
	s_or_b64 exec, exec, s[6:7]
	v_mad_u64_u32 v[0:1], s[6:7], v0, s8, 1
	v_and_b32_e32 v1, 0x7fffffff, v0
	v_cvt_f32_u32_e32 v1, v1
	v_mul_f32_e32 v1, 0x30000000, v1
	v_mul_f32_e32 v1, 0x41f00000, v1
	v_cvt_i32_f32_e32 v1, v1
	v_cmp_ne_u32_e32 vcc, 26, v1
	s_and_saveexec_b64 s[6:7], vcc
	s_cbranch_execz .LBB1_56
; %bb.55:
	v_mov_b32_e32 v3, 0x720
	v_lshl_add_u32 v1, v1, 2, v3
	buffer_load_dword v3, v1, s[0:3], 0 offen
	buffer_load_dword v4, off, s[0:3], 0 offset:1928
	s_waitcnt vmcnt(0)
	v_sub_u32_e32 v3, v4, v3
	buffer_store_dword v3, off, s[0:3], 0 offset:1928
	buffer_load_dword v4, v1, s[0:3], 0 offen
	s_waitcnt vmcnt(0)
	v_add_u32_e32 v3, v4, v3
	buffer_store_dword v3, v1, s[0:3], 0 offen
	buffer_load_dword v1, off, s[0:3], 0 offset:1928
	s_waitcnt vmcnt(0)
	v_sub_u32_e32 v1, v3, v1
	buffer_store_dword v1, off, s[0:3], 0 offset:1928
.LBB1_56:
	s_or_b64 exec, exec, s[6:7]
	v_mad_u64_u32 v[0:1], s[6:7], v0, s8, 1
	v_and_b32_e32 v1, 0x7fffffff, v0
	v_cvt_f32_u32_e32 v1, v1
	v_mul_f32_e32 v1, 0x30000000, v1
	v_mul_f32_e32 v1, 0x41f00000, v1
	v_cvt_i32_f32_e32 v1, v1
	v_cmp_ne_u32_e32 vcc, 27, v1
	s_and_saveexec_b64 s[6:7], vcc
	s_cbranch_execz .LBB1_58
; %bb.57:
	v_mov_b32_e32 v3, 0x720
	v_lshl_add_u32 v1, v1, 2, v3
	buffer_load_dword v3, v1, s[0:3], 0 offen
	buffer_load_dword v4, off, s[0:3], 0 offset:1932
	s_waitcnt vmcnt(0)
	v_sub_u32_e32 v3, v4, v3
	buffer_store_dword v3, off, s[0:3], 0 offset:1932
	buffer_load_dword v4, v1, s[0:3], 0 offen
	s_waitcnt vmcnt(0)
	v_add_u32_e32 v3, v4, v3
	buffer_store_dword v3, v1, s[0:3], 0 offen
	buffer_load_dword v1, off, s[0:3], 0 offset:1932
	s_waitcnt vmcnt(0)
	v_sub_u32_e32 v1, v3, v1
	buffer_store_dword v1, off, s[0:3], 0 offset:1932
.LBB1_58:
	s_or_b64 exec, exec, s[6:7]
	s_mov_b32 s10, 0x1984a2d
	v_mad_u64_u32 v[0:1], s[6:7], v0, s10, 1
	v_and_b32_e32 v1, 0x7fffffff, v0
	v_cvt_f32_u32_e32 v1, v1
	s_load_dwordx2 s[8:9], s[4:5], 0x8
	v_mul_f32_e32 v1, 0x30000000, v1
	v_mul_f32_e32 v1, 0x41f00000, v1
	v_cvt_i32_f32_e32 v1, v1
	v_cmp_ne_u32_e32 vcc, 28, v1
	s_and_saveexec_b64 s[6:7], vcc
	s_cbranch_execz .LBB1_60
; %bb.59:
	v_mov_b32_e32 v3, 0x720
	v_lshl_add_u32 v1, v1, 2, v3
	buffer_load_dword v3, v1, s[0:3], 0 offen
	buffer_load_dword v4, off, s[0:3], 0 offset:1936
	s_waitcnt vmcnt(0)
	v_sub_u32_e32 v3, v4, v3
	buffer_store_dword v3, off, s[0:3], 0 offset:1936
	buffer_load_dword v4, v1, s[0:3], 0 offen
	s_waitcnt vmcnt(0)
	v_add_u32_e32 v3, v4, v3
	buffer_store_dword v3, v1, s[0:3], 0 offen
	buffer_load_dword v1, off, s[0:3], 0 offset:1936
	s_waitcnt vmcnt(0)
	v_sub_u32_e32 v1, v3, v1
	buffer_store_dword v1, off, s[0:3], 0 offset:1936
.LBB1_60:
	s_or_b64 exec, exec, s[6:7]
	buffer_load_dword v74, off, s[0:3], 0 offset:1940
	v_mad_u64_u32 v[0:1], s[6:7], v0, s10, 1
	v_and_b32_e32 v75, 0x7fffffff, v0
	v_cvt_f32_u32_e32 v0, v75
	s_load_dwordx2 s[6:7], s[4:5], 0x18
	v_mov_b32_e32 v65, 0xde0
	v_mul_f32_e32 v0, 0x30000000, v0
	v_mul_f32_e32 v0, 0x41f00000, v0
	v_cvt_i32_f32_e32 v0, v0
	v_cmp_ne_u32_e32 vcc, 29, v0
	s_and_saveexec_b64 s[4:5], vcc
	s_cbranch_execz .LBB1_62
; %bb.61:
	v_mov_b32_e32 v1, 0x720
	v_lshl_add_u32 v0, v0, 2, v1
	buffer_load_dword v1, v0, s[0:3], 0 offen
	s_waitcnt vmcnt(0)
	v_sub_u32_e32 v1, v74, v1
	buffer_store_dword v1, off, s[0:3], 0 offset:1940
	buffer_load_dword v3, v0, s[0:3], 0 offen
	s_waitcnt vmcnt(0)
	v_add_u32_e32 v1, v3, v1
	buffer_store_dword v1, v0, s[0:3], 0 offen
	buffer_load_dword v0, off, s[0:3], 0 offset:1940
	s_waitcnt vmcnt(0)
	v_sub_u32_e32 v74, v1, v0
	buffer_store_dword v74, off, s[0:3], 0 offset:1940
.LBB1_62:
	s_or_b64 exec, exec, s[4:5]
	buffer_load_dword v76, off, s[0:3], 0 offset:1824
	buffer_load_dword v4, off, s[0:3], 0 offset:1828
	;; [unrolled: 1-line block ×29, first 2 shown]
	v_mov_b32_e32 v66, 16
	s_waitcnt lgkmcnt(0)
	s_add_u32 s11, s8, 8
	v_add_u32_e32 v64, 0x630, v65
	v_add_u32_e32 v0, 52, v66
	s_addc_u32 s13, s9, 0
	s_mov_b32 s26, 0
	v_mov_b32_e32 v77, 0x497423f0
	s_mov_b32 s27, 0x1984a2d
	s_brev_b32 s10, 12
	s_movk_i32 s28, 0x45
	s_mov_b32 s29, 0x41e00000
	s_mov_b32 s30, 0x84ee0be9
	;; [unrolled: 1-line block ×4, first 2 shown]
	v_mov_b32_e32 v1, 0
	v_mov_b32_e32 v67, 0x1420
	;; [unrolled: 1-line block ×3, first 2 shown]
	s_mov_b32 s12, 0x41f00000
	v_mov_b32_e32 v69, 14
	v_mov_b32_e32 v70, 13
	;; [unrolled: 1-line block ×3, first 2 shown]
	s_mov_b32 s34, 0x8889
	v_mov_b32_e32 v72, 0x7a0
	v_mov_b32_e32 v73, 2
	s_branch .LBB1_64
.LBB1_63:                               ;   in Loop: Header=BB1_64 Depth=1
	s_or_b64 exec, exec, s[4:5]
	s_add_i32 s26, s26, 1
	s_cmp_eq_u32 s26, 0x249f0
	s_cbranch_scc1 .LBB1_121
.LBB1_64:                               ; =>This Loop Header: Depth=1
                                        ;     Child Loop BB1_71 Depth 2
                                        ;     Child Loop BB1_75 Depth 2
	;; [unrolled: 1-line block ×3, first 2 shown]
                                        ;       Child Loop BB1_86 Depth 3
                                        ;     Child Loop BB1_95 Depth 2
                                        ;     Child Loop BB1_101 Depth 2
                                        ;       Child Loop BB1_106 Depth 3
                                        ;       Child Loop BB1_110 Depth 3
                                        ;     Child Loop BB1_112 Depth 2
                                        ;     Child Loop BB1_114 Depth 2
	;; [unrolled: 1-line block ×3, first 2 shown]
	v_mad_u64_u32 v[32:33], s[4:5], v75, s27, 1
	v_and_b32_e32 v3, 0x7fffffff, v32
	v_cvt_f32_u32_e32 v33, v3
                                        ; implicit-def: $vgpr75
	v_mul_f32_e32 v33, 0x30000000, v33
	v_mul_f32_e32 v33, 0x42c80000, v33
	v_cvt_i32_f32_e32 v33, v33
	v_cmp_lt_i32_e32 vcc, 49, v33
	s_and_saveexec_b64 s[4:5], vcc
	s_xor_b64 s[14:15], exec, s[4:5]
	s_cbranch_execz .LBB1_91
; %bb.65:                               ;   in Loop: Header=BB1_64 Depth=1
	v_cmp_lt_u32_e32 vcc, s28, v33
                                        ; implicit-def: $vgpr75
	s_and_saveexec_b64 s[4:5], vcc
	s_xor_b64 s[16:17], exec, s[4:5]
	s_cbranch_execz .LBB1_79
; %bb.66:                               ;   in Loop: Header=BB1_64 Depth=1
	v_mul_lo_u32 v3, v32, s30
	v_add_u32_e32 v3, 0x1984a2e, v3
	v_and_b32_e32 v3, 0x7fffffff, v3
	v_cvt_f32_u32_e32 v3, v3
	v_mad_u64_u32 v[34:35], s[4:5], v32, s27, 1
	v_mul_lo_u32 v33, v32, s31
	v_mul_f32_e32 v3, 0x30000000, v3
	v_mul_f32_e32 v3, 0x41e80000, v3
	v_cvt_i32_f32_e32 v32, v3
	v_add_u32_e32 v33, 0x86865617, v33
	v_and_b32_e32 v75, 0x7fffffff, v33
	v_and_b32_e32 v3, 0x7fffffff, v34
	v_add_u32_e32 v34, 1, v32
	v_cvt_f32_u32_e32 v33, v75
	v_cvt_f32_i32_e32 v34, v34
	v_cvt_f32_u32_e32 v3, v3
	s_waitcnt vmcnt(28)
	buffer_store_dword v76, v64, s[0:3], 0 offen offset:16
	s_waitcnt vmcnt(27)
	buffer_store_dword v5, v64, s[0:3], 0 offen offset:24
	buffer_store_dword v4, v64, s[0:3], 0 offen offset:20
	s_waitcnt vmcnt(27)
	buffer_store_dword v7, v64, s[0:3], 0 offen offset:32
	;; [unrolled: 3-line block ×9, first 2 shown]
	s_waitcnt vmcnt(23)
	buffer_store_dword v26, v64, s[0:3], 0 offen offset:84
	buffer_store_dword v25, v64, s[0:3], 0 offen offset:96
	;; [unrolled: 1-line block ×5, first 2 shown]
	s_waitcnt vmcnt(27)
	buffer_store_dword v21, v64, s[0:3], 0 offen offset:112
	buffer_store_dword v20, v64, s[0:3], 0 offen offset:108
	s_waitcnt vmcnt(26)
	buffer_store_dword v31, v64, s[0:3], 0 offen offset:120
	s_waitcnt vmcnt(26)
	buffer_store_dword v30, v64, s[0:3], 0 offen offset:116
	buffer_store_dword v29, v64, s[0:3], 0 offen offset:128
	;; [unrolled: 1-line block ×4, first 2 shown]
	v_mul_f32_e32 v33, 0x30000000, v33
	v_fmac_f32_e32 v34, 0x41e00000, v33
	v_cvt_i32_f32_e32 v33, v34
	v_mul_f32_e32 v3, 0x30000000, v3
	v_fma_f32 v3, v3, s29, 1.0
	v_cvt_i32_f32_e32 v3, v3
	v_mul_hi_i32 v34, v33, s33
	v_add_u32_e32 v34, v34, v33
	v_lshrrev_b32_e32 v35, 31, v34
	v_ashrrev_i32_e32 v34, 4, v34
	v_add_u32_e32 v34, v34, v35
	v_mul_lo_u32 v34, v34, 30
	v_sub_u32_e32 v33, v33, v34
	v_sub_u32_e32 v33, v33, v32
	v_add_u32_e32 v33, 30, v33
	v_mul_hi_i32 v34, v33, s33
	v_add_u32_e32 v34, v34, v33
	v_lshrrev_b32_e32 v35, 31, v34
	v_ashrrev_i32_e32 v34, 4, v34
	v_add_u32_e32 v34, v34, v35
	v_mul_lo_u32 v34, v34, 30
	v_sub_u32_e32 v36, v33, v34
	v_add_u32_e32 v3, v36, v3
	v_mul_hi_i32 v33, v3, s33
	v_add_u32_e32 v33, v33, v3
	v_lshrrev_b32_e32 v34, 31, v33
	v_ashrrev_i32_e32 v33, 4, v33
	v_add_u32_e32 v33, v33, v34
	v_mul_lo_u32 v33, v33, 30
	v_sub_u32_e32 v38, v3, v33
	v_cmp_lt_i32_e32 vcc, 0, v38
	s_and_saveexec_b64 s[18:19], vcc
	s_cbranch_execz .LBB1_78
; %bb.67:                               ;   in Loop: Header=BB1_64 Depth=1
	v_cmp_ne_u32_e32 vcc, 1, v38
	s_mov_b64 s[22:23], 0
	v_sub_u32_e32 v3, 0, v38
                                        ; implicit-def: $vgpr39
                                        ; implicit-def: $vgpr37
	s_and_saveexec_b64 s[4:5], vcc
	s_xor_b64 s[20:21], exec, s[4:5]
                                        ; implicit-def: $vgpr34_vgpr35
	s_cbranch_execnz .LBB1_70
; %bb.68:                               ;   in Loop: Header=BB1_64 Depth=1
	s_andn2_saveexec_b64 s[4:5], s[20:21]
	s_cbranch_execnz .LBB1_73
.LBB1_69:                               ;   in Loop: Header=BB1_64 Depth=1
	s_or_b64 exec, exec, s[4:5]
	s_and_saveexec_b64 s[4:5], s[22:23]
	s_cbranch_execnz .LBB1_74
	s_branch .LBB1_77
.LBB1_70:                               ;   in Loop: Header=BB1_64 Depth=1
	v_max_i32_e32 v37, v38, v3
	v_cvt_f32_u32_e32 v3, v37
	v_sub_u32_e32 v35, 0, v37
	v_and_b32_e32 v39, 0x7ffffffe, v38
	v_mov_b32_e32 v33, v36
	v_rcp_iflag_f32_e32 v34, v3
	v_mov_b32_e32 v3, v32
	s_mov_b32 s24, 0
	s_mov_b32 s25, 1
	v_mul_f32_e32 v34, 0x4f7ffffe, v34
	v_cvt_u32_f32_e32 v34, v34
	v_mul_lo_u32 v35, v35, v34
	v_mul_hi_u32 v35, v34, v35
	v_add_u32_e32 v34, v34, v35
	v_mov_b32_e32 v35, v39
.LBB1_71:                               ;   Parent Loop BB1_64 Depth=1
                                        ; =>  This Inner Loop Header: Depth=2
	v_add_u32_e32 v41, s24, v32
	v_add_u32_e32 v40, s25, v3
	v_mul_hi_i32 v42, v41, s33
	v_mul_hi_i32 v43, v40, s33
	v_add_u32_e32 v42, v42, v41
	v_add_u32_e32 v43, v43, v40
	v_lshrrev_b32_e32 v44, 31, v42
	v_ashrrev_i32_e32 v42, 4, v42
	v_lshrrev_b32_e32 v45, 31, v43
	v_ashrrev_i32_e32 v43, 4, v43
	v_add_u32_e32 v42, v42, v44
	v_add_u32_e32 v43, v43, v45
	v_mul_lo_u32 v42, v42, 30
	v_mul_lo_u32 v43, v43, 30
	v_sub_u32_e32 v41, v41, v42
	v_sub_u32_e32 v40, v40, v43
	v_lshl_add_u32 v41, v41, 2, v67
	v_lshl_add_u32 v40, v40, 2, v67
	buffer_load_dword v42, v41, s[0:3], 0 offen
	buffer_load_dword v43, v40, s[0:3], 0 offen
	v_add_u32_e32 v41, s24, v36
	v_add_u32_e32 v40, s25, v33
	v_sub_u32_e32 v45, 0, v41
	v_ashrrev_i32_e32 v44, 31, v41
	v_sub_u32_e32 v47, 0, v40
	v_max_i32_e32 v41, v41, v45
	v_ashrrev_i32_e32 v46, 31, v40
	v_max_i32_e32 v40, v40, v47
	v_mul_hi_u32 v45, v41, v34
	v_mul_hi_u32 v47, v40, v34
	v_mul_lo_u32 v45, v45, v37
	v_add_u32_e32 v35, -2, v35
	v_mul_lo_u32 v47, v47, v37
	v_sub_u32_e32 v41, v41, v45
	s_add_i32 s24, s24, 2
	s_add_i32 s25, s25, 2
	v_cmp_eq_u32_e32 vcc, 0, v35
	v_sub_u32_e32 v40, v40, v47
	v_sub_u32_e32 v45, v41, v37
	v_cmp_ge_u32_e64 s[4:5], v41, v37
	s_or_b64 s[22:23], vcc, s[22:23]
	v_sub_u32_e32 v47, v40, v37
	v_cmp_ge_u32_e32 vcc, v40, v37
	v_cndmask_b32_e64 v41, v41, v45, s[4:5]
	v_cndmask_b32_e32 v40, v40, v47, vcc
	v_sub_u32_e32 v45, v41, v37
	v_cmp_ge_u32_e64 s[4:5], v41, v37
	v_sub_u32_e32 v47, v40, v37
	v_cmp_ge_u32_e32 vcc, v40, v37
	v_cndmask_b32_e64 v41, v41, v45, s[4:5]
	v_cndmask_b32_e32 v40, v40, v47, vcc
	v_xor_b32_e32 v41, v41, v44
	v_xor_b32_e32 v40, v40, v46
	v_sub_u32_e32 v41, v41, v44
	v_sub_u32_e32 v40, v40, v46
	v_add_u32_e32 v41, v41, v32
	v_add_u32_e32 v40, v40, v3
	v_mul_hi_i32 v44, v41, s33
	v_mul_hi_i32 v45, v40, s33
	v_add_u32_e32 v44, v44, v41
	v_add_u32_e32 v45, v45, v40
	v_lshrrev_b32_e32 v46, 31, v44
	v_ashrrev_i32_e32 v44, 4, v44
	v_lshrrev_b32_e32 v47, 31, v45
	v_ashrrev_i32_e32 v45, 4, v45
	v_add_u32_e32 v44, v44, v46
	v_add_u32_e32 v45, v45, v47
	v_mul_lo_u32 v44, v44, 30
	v_mul_lo_u32 v45, v45, 30
	v_sub_u32_e32 v41, v41, v44
	v_sub_u32_e32 v40, v40, v45
	v_lshl_add_u32 v41, v41, 2, v68
	v_lshl_add_u32 v40, v40, 2, v68
	s_waitcnt vmcnt(1)
	buffer_store_dword v42, v41, s[0:3], 0 offen
	s_waitcnt vmcnt(1)
	buffer_store_dword v43, v40, s[0:3], 0 offen
	s_andn2_b64 exec, exec, s[22:23]
	s_cbranch_execnz .LBB1_71
; %bb.72:                               ;   in Loop: Header=BB1_64 Depth=1
	s_or_b64 exec, exec, s[22:23]
	v_cmp_ne_u32_e32 vcc, v38, v39
	s_and_b64 s[22:23], vcc, exec
                                        ; implicit-def: $vgpr3
	s_andn2_saveexec_b64 s[4:5], s[20:21]
	s_cbranch_execz .LBB1_69
.LBB1_73:                               ;   in Loop: Header=BB1_64 Depth=1
	v_max_i32_e32 v37, v38, v3
	v_cvt_f32_u32_e32 v3, v37
	v_sub_u32_e32 v33, 0, v37
	v_mov_b32_e32 v39, 0
	s_or_b64 s[22:23], s[22:23], exec
	v_rcp_iflag_f32_e32 v3, v3
	v_mul_f32_e32 v3, 0x4f7ffffe, v3
	v_cvt_u32_f32_e32 v3, v3
	v_mul_lo_u32 v33, v33, v3
	v_mul_hi_u32 v33, v3, v33
	v_add_u32_e32 v34, v3, v33
	s_or_b64 exec, exec, s[4:5]
	s_and_saveexec_b64 s[4:5], s[22:23]
	s_cbranch_execz .LBB1_77
.LBB1_74:                               ;   in Loop: Header=BB1_64 Depth=1
	v_sub_u32_e32 v3, v38, v39
	v_add_u32_e32 v33, v39, v36
	v_add_u32_e32 v35, v39, v32
	s_mov_b64 s[20:21], 0
.LBB1_75:                               ;   Parent Loop BB1_64 Depth=1
                                        ; =>  This Inner Loop Header: Depth=2
	v_mul_hi_i32 v36, v35, s33
	v_add_u32_e32 v36, v36, v35
	v_lshrrev_b32_e32 v38, 31, v36
	v_ashrrev_i32_e32 v36, 4, v36
	v_add_u32_e32 v36, v36, v38
	v_mul_lo_u32 v36, v36, 30
	v_sub_u32_e32 v36, v35, v36
	v_lshl_add_u32 v36, v36, 2, v67
	buffer_load_dword v40, v36, s[0:3], 0 offen
	v_sub_u32_e32 v36, 0, v33
	v_max_i32_e32 v42, v33, v36
	v_mul_hi_u32 v36, v42, v34
	v_mad_u64_u32 v[38:39], s[22:23], v42, v1, v[36:37]
	v_add_u32_e32 v3, -1, v3
	v_mul_lo_u32 v36, v38, v37
	v_cmp_eq_u32_e32 vcc, 0, v3
	v_sub_u32_e32 v36, v42, v36
	s_or_b64 s[20:21], vcc, s[20:21]
	v_sub_u32_e32 v38, v36, v37
	v_cmp_ge_u32_e32 vcc, v36, v37
	v_cndmask_b32_e32 v36, v36, v38, vcc
	v_sub_u32_e32 v38, v36, v37
	v_cmp_ge_u32_e32 vcc, v36, v37
	v_ashrrev_i32_e32 v41, 31, v33
	v_cndmask_b32_e32 v36, v36, v38, vcc
	v_xor_b32_e32 v36, v36, v41
	v_sub_u32_e32 v36, v36, v41
	v_add_u32_e32 v36, v36, v32
	v_mul_hi_i32 v38, v36, s33
	v_add_u32_e32 v38, v38, v36
	v_lshrrev_b32_e32 v39, 31, v38
	v_ashrrev_i32_e32 v38, 4, v38
	v_add_u32_e32 v38, v38, v39
	v_mul_lo_u32 v38, v38, 30
	v_sub_u32_e32 v36, v36, v38
	v_add_u32_e32 v33, 1, v33
	v_add_u32_e32 v35, 1, v35
	v_lshl_add_u32 v36, v36, 2, v68
	s_waitcnt vmcnt(0)
	buffer_store_dword v40, v36, s[0:3], 0 offen
	s_andn2_b64 exec, exec, s[20:21]
	s_cbranch_execnz .LBB1_75
; %bb.76:                               ;   in Loop: Header=BB1_64 Depth=1
	s_or_b64 exec, exec, s[20:21]
.LBB1_77:                               ;   in Loop: Header=BB1_64 Depth=1
	s_or_b64 exec, exec, s[4:5]
.LBB1_78:                               ;   in Loop: Header=BB1_64 Depth=1
	s_or_b64 exec, exec, s[18:19]
                                        ; implicit-def: $vgpr3
.LBB1_79:                               ;   in Loop: Header=BB1_64 Depth=1
	s_andn2_saveexec_b64 s[4:5], s[16:17]
	s_cbranch_execz .LBB1_90
; %bb.80:                               ;   in Loop: Header=BB1_64 Depth=1
	v_mad_u64_u32 v[32:33], s[16:17], v3, s27, 1
	v_and_b32_e32 v75, 0x7fffffff, v32
	v_cvt_f32_u32_e32 v3, v75
	v_mul_f32_e32 v3, 0x30000000, v3
	v_fma_f32 v3, v3, 2.0, 1.0
	v_cmp_lt_f32_e32 vcc, 0, v3
	s_and_saveexec_b64 s[16:17], vcc
	s_cbranch_execz .LBB1_89
; %bb.81:                               ;   in Loop: Header=BB1_64 Depth=1
	s_mov_b32 s35, 0
	s_mov_b64 s[18:19], 0
	s_branch .LBB1_83
.LBB1_82:                               ;   in Loop: Header=BB1_83 Depth=2
	s_or_b64 exec, exec, s[20:21]
	v_mad_u64_u32 v[32:33], s[20:21], v3, s27, 1
	v_and_b32_e32 v75, 0x7fffffff, v32
	v_cvt_f32_u32_e32 v3, v75
	s_add_i32 s35, s35, 1
	v_cvt_f32_u32_e32 v33, s35
	v_mul_f32_e32 v3, 0x30000000, v3
	v_fma_f32 v3, v3, 2.0, 1.0
	v_cmp_ngt_f32_e32 vcc, v3, v33
	s_or_b64 s[18:19], vcc, s[18:19]
	s_andn2_b64 exec, exec, s[18:19]
	s_cbranch_execz .LBB1_88
.LBB1_83:                               ;   Parent Loop BB1_64 Depth=1
                                        ; =>  This Loop Header: Depth=2
                                        ;       Child Loop BB1_86 Depth 3
	v_mul_lo_u32 v3, v32, s30
	v_mad_u64_u32 v[34:35], s[20:21], v32, s27, 1
	v_add_u32_e32 v3, 0x1984a2e, v3
	v_and_b32_e32 v3, 0x7fffffff, v3
	v_and_b32_e32 v33, 0x7fffffff, v34
	v_cvt_f32_u32_e32 v35, v33
	v_cvt_f32_u32_e32 v34, v3
	v_mul_lo_u32 v3, v32, s31
	v_add_u32_e32 v3, 0x86865617, v3
	v_and_b32_e32 v3, 0x7fffffff, v3
	v_pk_mul_f32 v[34:35], v[34:35], s[10:11] op_sel_hi:[1,0]
	v_pk_mul_f32 v[34:35], v[34:35], s[12:13] op_sel_hi:[1,0]
	v_cvt_i32_f32_e32 v33, v35
	v_cvt_i32_f32_e32 v34, v34
	v_cvt_f32_u32_e32 v32, v3
	v_sub_u32_e32 v35, v33, v34
	v_sub_u32_e32 v36, 0, v35
	v_max_i32_e32 v35, v35, v36
	v_add_u32_e32 v35, -1, v35
	v_cvt_f32_i32_e32 v35, v35
	v_mul_f32_e32 v32, 0x30000000, v32
	v_fma_f32 v32, v32, v35, 1.0
	v_cvt_i32_f32_e32 v32, v32
	v_cmp_lt_i32_e32 vcc, 0, v32
	s_and_saveexec_b64 s[20:21], vcc
	s_cbranch_execz .LBB1_82
; %bb.84:                               ;   in Loop: Header=BB1_83 Depth=2
	s_mov_b32 s36, 0
	s_mov_b64 s[22:23], 0
	s_branch .LBB1_86
.LBB1_85:                               ;   in Loop: Header=BB1_86 Depth=3
	s_or_b64 exec, exec, s[24:25]
	s_add_i32 s36, s36, 1
	v_cmp_eq_u32_e32 vcc, s36, v32
	s_or_b64 s[22:23], vcc, s[22:23]
	s_andn2_b64 exec, exec, s[22:23]
	s_cbranch_execz .LBB1_82
.LBB1_86:                               ;   Parent Loop BB1_64 Depth=1
                                        ;     Parent Loop BB1_83 Depth=2
                                        ; =>    This Inner Loop Header: Depth=3
	v_add_u32_e32 v35, s36, v34
	v_mul_hi_i32 v37, v35, s33
	v_add_u32_e32 v37, v37, v35
	v_lshrrev_b32_e32 v38, 31, v37
	v_ashrrev_i32_e32 v37, 4, v37
	v_add_u32_e32 v37, v37, v38
	v_add_u32_e32 v36, s36, v33
	v_mul_lo_u32 v37, v37, 30
	v_sub_u32_e32 v35, v35, v37
	v_mul_hi_i32 v37, v36, s33
	v_add_u32_e32 v37, v37, v36
	v_lshrrev_b32_e32 v38, 31, v37
	v_ashrrev_i32_e32 v37, 4, v37
	v_add_u32_e32 v37, v37, v38
	v_mul_lo_u32 v37, v37, 30
	v_sub_u32_e32 v36, v36, v37
	v_cmp_ne_u32_e32 vcc, v36, v35
	s_and_saveexec_b64 s[24:25], vcc
	s_cbranch_execz .LBB1_85
; %bb.87:                               ;   in Loop: Header=BB1_86 Depth=3
	v_lshl_add_u32 v35, v35, 2, v68
	v_lshl_add_u32 v36, v36, 2, v68
	buffer_load_dword v37, v35, s[0:3], 0 offen
	buffer_load_dword v38, v36, s[0:3], 0 offen
	s_waitcnt vmcnt(0)
	v_sub_u32_e32 v37, v38, v37
	buffer_store_dword v37, v36, s[0:3], 0 offen
	buffer_load_dword v38, v35, s[0:3], 0 offen
	s_waitcnt vmcnt(0)
	v_add_u32_e32 v37, v38, v37
	buffer_store_dword v37, v35, s[0:3], 0 offen
	buffer_load_dword v35, v36, s[0:3], 0 offen
	s_waitcnt vmcnt(0)
	v_sub_u32_e32 v35, v37, v35
	buffer_store_dword v35, v36, s[0:3], 0 offen
	s_branch .LBB1_85
.LBB1_88:                               ;   in Loop: Header=BB1_64 Depth=1
	s_or_b64 exec, exec, s[18:19]
.LBB1_89:                               ;   in Loop: Header=BB1_64 Depth=1
	s_or_b64 exec, exec, s[16:17]
.LBB1_90:                               ;   in Loop: Header=BB1_64 Depth=1
	s_or_b64 exec, exec, s[4:5]
                                        ; implicit-def: $vgpr3
.LBB1_91:                               ;   in Loop: Header=BB1_64 Depth=1
	s_andn2_saveexec_b64 s[4:5], s[14:15]
	s_cbranch_execz .LBB1_99
; %bb.92:                               ;   in Loop: Header=BB1_64 Depth=1
	v_mad_u64_u32 v[32:33], s[14:15], v3, s27, 1
	v_and_b32_e32 v75, 0x7fffffff, v32
	v_cvt_f32_u32_e32 v3, v75
	v_mul_f32_e32 v3, 0x30000000, v3
	v_fma_f32 v3, v3, 4.0, 1.0
	v_cmp_lt_f32_e32 vcc, 0, v3
	s_and_saveexec_b64 s[14:15], vcc
	s_cbranch_execz .LBB1_98
; %bb.93:                               ;   in Loop: Header=BB1_64 Depth=1
	s_mov_b32 s20, 1
	s_mov_b64 s[16:17], 0
	s_branch .LBB1_95
.LBB1_94:                               ;   in Loop: Header=BB1_95 Depth=2
	s_or_b64 exec, exec, s[18:19]
	v_mad_u64_u32 v[32:33], s[18:19], v3, s27, 1
	v_and_b32_e32 v75, 0x7fffffff, v32
	v_cvt_f32_u32_e32 v3, v75
	v_cvt_f32_u32_e32 v33, s20
	s_add_i32 s20, s20, 1
	v_mul_f32_e32 v3, 0x30000000, v3
	v_fma_f32 v3, v3, 4.0, 1.0
	v_cmp_ngt_f32_e32 vcc, v3, v33
	s_or_b64 s[16:17], vcc, s[16:17]
	s_andn2_b64 exec, exec, s[16:17]
	s_cbranch_execz .LBB1_97
.LBB1_95:                               ;   Parent Loop BB1_64 Depth=1
                                        ; =>  This Inner Loop Header: Depth=2
	v_mul_lo_u32 v3, v32, s30
	v_mad_u64_u32 v[34:35], s[18:19], v32, s27, 1
	v_add_u32_e32 v3, 0x1984a2e, v3
	v_and_b32_e32 v32, 0x7fffffff, v34
	v_and_b32_e32 v3, 0x7fffffff, v3
	v_cvt_f32_u32_e32 v33, v32
	v_cvt_f32_u32_e32 v32, v3
	v_pk_mul_f32 v[32:33], v[32:33], s[10:11] op_sel_hi:[1,0]
	v_pk_mul_f32 v[34:35], v[32:33], s[12:13] op_sel_hi:[1,0]
	v_cvt_i32_f32_e32 v33, v34
	v_cvt_i32_f32_e32 v32, v35
	v_cmp_ne_u32_e32 vcc, v32, v33
	s_and_saveexec_b64 s[18:19], vcc
	s_cbranch_execz .LBB1_94
; %bb.96:                               ;   in Loop: Header=BB1_95 Depth=2
	v_lshl_add_u32 v33, v33, 2, v68
	v_lshl_add_u32 v32, v32, 2, v68
	buffer_load_dword v34, v33, s[0:3], 0 offen
	buffer_load_dword v35, v32, s[0:3], 0 offen
	s_waitcnt vmcnt(0)
	v_sub_u32_e32 v34, v35, v34
	buffer_store_dword v34, v32, s[0:3], 0 offen
	buffer_load_dword v35, v33, s[0:3], 0 offen
	s_waitcnt vmcnt(0)
	v_add_u32_e32 v34, v35, v34
	buffer_store_dword v34, v33, s[0:3], 0 offen
	buffer_load_dword v33, v32, s[0:3], 0 offen
	s_waitcnt vmcnt(0)
	v_sub_u32_e32 v33, v34, v33
	buffer_store_dword v33, v32, s[0:3], 0 offen
	s_branch .LBB1_94
.LBB1_97:                               ;   in Loop: Header=BB1_64 Depth=1
	s_or_b64 exec, exec, s[16:17]
.LBB1_98:                               ;   in Loop: Header=BB1_64 Depth=1
	s_or_b64 exec, exec, s[14:15]
.LBB1_99:                               ;   in Loop: Header=BB1_64 Depth=1
	s_or_b64 exec, exec, s[4:5]
	buffer_load_dword v3, off, s[0:3], 0 offset:1824
	buffer_load_dword v32, off, s[0:3], 0 offset:1828
	buffer_load_dword v33, off, s[0:3], 0 offset:1832
	buffer_load_dword v34, off, s[0:3], 0 offset:1836
	buffer_load_dword v35, off, s[0:3], 0 offset:1840
	buffer_load_dword v36, off, s[0:3], 0 offset:1844
	buffer_load_dword v37, off, s[0:3], 0 offset:1848
	buffer_load_dword v38, off, s[0:3], 0 offset:1852
	buffer_load_dword v39, off, s[0:3], 0 offset:1856
	buffer_load_dword v40, off, s[0:3], 0 offset:1860
	buffer_load_dword v41, off, s[0:3], 0 offset:1864
	buffer_load_dword v42, off, s[0:3], 0 offset:1868
	buffer_load_dword v43, off, s[0:3], 0 offset:1872
	buffer_load_dword v44, off, s[0:3], 0 offset:1876
	buffer_load_dword v45, off, s[0:3], 0 offset:1880
	buffer_load_dword v46, off, s[0:3], 0 offset:1884
	buffer_load_dword v47, off, s[0:3], 0 offset:1888
	buffer_load_dword v48, off, s[0:3], 0 offset:1916
	buffer_load_dword v51, off, s[0:3], 0 offset:1912
	buffer_load_dword v50, off, s[0:3], 0 offset:1908
	buffer_load_dword v53, off, s[0:3], 0 offset:1904
	buffer_load_dword v52, off, s[0:3], 0 offset:1900
	buffer_load_dword v55, off, s[0:3], 0 offset:1896
	buffer_load_dword v54, off, s[0:3], 0 offset:1892
	buffer_load_dword v49, off, s[0:3], 0 offset:1920
	buffer_load_dword v78, off, s[0:3], 0 offset:1940
	buffer_load_dword v57, off, s[0:3], 0 offset:1936
	buffer_load_dword v56, off, s[0:3], 0 offset:1932
	buffer_load_dword v59, off, s[0:3], 0 offset:1928
	buffer_load_dword v58, off, s[0:3], 0 offset:1924
	s_mov_b32 s18, 0
	buffer_store_dword v69, off, s[0:3], 0 offset:1700
	buffer_store_dword v69, off, s[0:3], 0 offset:1696
	;; [unrolled: 1-line block ×30, first 2 shown]
	s_branch .LBB1_101
.LBB1_100:                              ;   in Loop: Header=BB1_101 Depth=2
	s_or_b64 exec, exec, s[14:15]
	s_add_i32 s18, s18, 1
	s_cmp_lg_u32 s18, 30
	s_cbranch_scc0 .LBB1_111
.LBB1_101:                              ;   Parent Loop BB1_64 Depth=1
                                        ; =>  This Loop Header: Depth=2
                                        ;       Child Loop BB1_106 Depth 3
                                        ;       Child Loop BB1_110 Depth 3
	s_lshl_b32 s4, s18, 2
	v_add_u32_e32 v60, s4, v71
	buffer_load_dword v79, v60, s[0:3], 0 offen
	s_waitcnt vmcnt(0)
	v_cmp_lt_i32_e32 vcc, 0, v79
	s_and_saveexec_b64 s[14:15], vcc
	s_cbranch_execz .LBB1_100
; %bb.102:                              ;   in Loop: Header=BB1_101 Depth=2
	v_add_u32_e32 v60, s4, v68
	buffer_load_dword v80, v60, s[0:3], 0 offen
	v_cmp_lt_u32_e32 vcc, 3, v79
	s_mov_b64 s[16:17], 0
                                        ; implicit-def: $vgpr81
	s_waitcnt vmcnt(0)
	v_cmp_lt_i32_e64 s[4:5], v3, v80
	v_cndmask_b32_e64 v60, 0, 14, s[4:5]
	v_add_u32_e32 v61, 14, v60
	v_cmp_lt_i32_e64 s[4:5], v32, v80
	v_cndmask_b32_e64 v60, v60, v61, s[4:5]
	v_add_u32_e32 v61, 14, v60
	;; [unrolled: 3-line block ×29, first 2 shown]
	v_cmp_lt_i32_e64 s[4:5], v78, v80
	v_cndmask_b32_e64 v60, v60, v61, s[4:5]
	v_ashrrev_i32_e32 v61, 31, v60
	v_mul_lo_u32 v82, v80, 56
	s_and_saveexec_b64 s[4:5], vcc
	s_xor_b64 s[4:5], exec, s[4:5]
	s_cbranch_execnz .LBB1_105
; %bb.103:                              ;   in Loop: Header=BB1_101 Depth=2
	s_andn2_saveexec_b64 s[4:5], s[4:5]
	s_cbranch_execnz .LBB1_108
.LBB1_104:                              ;   in Loop: Header=BB1_101 Depth=2
	s_or_b64 exec, exec, s[4:5]
	s_and_b64 exec, exec, s[16:17]
	s_cbranch_execz .LBB1_100
	s_branch .LBB1_109
.LBB1_105:                              ;   in Loop: Header=BB1_101 Depth=2
	v_lshlrev_b64 v[62:63], 2, v[60:61]
	v_mov_b32_e32 v82, s13
	v_add_co_u32_e32 v62, vcc, s11, v62
	v_and_b32_e32 v81, 0x7ffffffc, v79
	v_addc_co_u32_e32 v63, vcc, v82, v63, vcc
	v_mul_lo_u32 v82, v80, 56
	v_add_u32_e32 v80, 16, v82
	v_mov_b32_e32 v83, v81
.LBB1_106:                              ;   Parent Loop BB1_64 Depth=1
                                        ;     Parent Loop BB1_101 Depth=2
                                        ; =>    This Inner Loop Header: Depth=3
	global_load_dwordx4 v[84:87], v[62:63], off offset:-8
	v_add_co_u32_e32 v62, vcc, 16, v62
	v_addc_co_u32_e32 v63, vcc, 0, v63, vcc
	v_add_u32_e32 v83, -4, v83
	v_cmp_eq_u32_e32 vcc, 0, v83
	s_or_b64 s[16:17], vcc, s[16:17]
	s_waitcnt vmcnt(0)
	buffer_store_dword v85, v80, s[0:3], 0 offen offset:4
	buffer_store_dword v84, v80, s[0:3], 0 offen
	buffer_store_dword v87, v80, s[0:3], 0 offen offset:12
	buffer_store_dword v86, v80, s[0:3], 0 offen offset:8
	v_add_u32_e32 v80, 16, v80
	s_andn2_b64 exec, exec, s[16:17]
	s_cbranch_execnz .LBB1_106
; %bb.107:                              ;   in Loop: Header=BB1_101 Depth=2
	s_or_b64 exec, exec, s[16:17]
	v_cmp_ne_u32_e32 vcc, v79, v81
	s_and_b64 s[16:17], vcc, exec
	s_andn2_saveexec_b64 s[4:5], s[4:5]
	s_cbranch_execz .LBB1_104
.LBB1_108:                              ;   in Loop: Header=BB1_101 Depth=2
	v_mov_b32_e32 v81, 0
	s_or_b64 s[16:17], s[16:17], exec
	s_or_b64 exec, exec, s[4:5]
	s_and_b64 exec, exec, s[16:17]
	s_cbranch_execz .LBB1_100
.LBB1_109:                              ;   in Loop: Header=BB1_101 Depth=2
	v_add_co_u32_e32 v60, vcc, v60, v81
	v_addc_co_u32_e32 v61, vcc, 0, v61, vcc
	v_lshlrev_b64 v[60:61], 2, v[60:61]
	v_sub_u32_e32 v62, v79, v81
	v_lshlrev_b32_e32 v63, 2, v81
	v_mov_b32_e32 v79, s9
	v_add_co_u32_e32 v60, vcc, s8, v60
	v_add3_u32 v63, v82, v63, v66
	v_addc_co_u32_e32 v61, vcc, v79, v61, vcc
	s_mov_b64 s[4:5], 0
.LBB1_110:                              ;   Parent Loop BB1_64 Depth=1
                                        ;     Parent Loop BB1_101 Depth=2
                                        ; =>    This Inner Loop Header: Depth=3
	global_load_dword v79, v[60:61], off
	v_add_co_u32_e32 v60, vcc, 4, v60
	v_add_u32_e32 v62, -1, v62
	v_addc_co_u32_e32 v61, vcc, 0, v61, vcc
	v_cmp_eq_u32_e32 vcc, 0, v62
	s_or_b64 s[4:5], vcc, s[4:5]
	s_waitcnt vmcnt(0)
	buffer_store_dword v79, v63, s[0:3], 0 offen
	v_add_u32_e32 v63, 4, v63
	s_andn2_b64 exec, exec, s[4:5]
	s_cbranch_execnz .LBB1_110
	s_branch .LBB1_100
.LBB1_111:                              ;   in Loop: Header=BB1_64 Depth=1
	s_mov_b32 s5, 0x10000
	s_mov_b32 s4, 0
.LBB1_112:                              ;   Parent Loop BB1_64 Depth=1
                                        ; =>  This Inner Loop Header: Depth=2
	s_and_b32 s14, s5, 0xffff
	s_lshr_b32 s15, s5, 16
	v_pk_add_u16 v60, s5, 2 op_sel_hi:[1,0]
	s_mul_i32 s14, s14, 0x8889
	s_mul_i32 s15, s15, 0x8889
	v_and_b32_e32 v80, 0xffff, v60
	s_lshr_b32 s14, s14, 20
	s_lshr_b32 s15, s15, 20
	v_lshrrev_b32_e32 v81, 16, v60
	v_mul_lo_u32 v80, v80, s34
	s_pack_ll_b32_b16 s16, s14, s15
	v_mul_lo_u32 v81, v81, s34
	v_lshrrev_b32_e32 v80, 20, v80
	v_pk_mul_lo_u16 v90, s16, 30 op_sel_hi:[1,0]
	v_lshrrev_b32_e32 v81, 20, v81
	v_and_b32_e32 v91, 0xffff, v80
	v_pk_sub_i16 v90, s5, v90
	v_lshl_or_b32 v91, v81, 16, v91
	v_lshlrev_b32_sdwa v96, v73, v90 dst_sel:DWORD dst_unused:UNUSED_PAD src0_sel:DWORD src1_sel:WORD_0
	v_lshlrev_b32_sdwa v90, v73, v90 dst_sel:DWORD dst_unused:UNUSED_PAD src0_sel:DWORD src1_sel:WORD_1
	v_pk_mul_lo_u16 v91, v91, 30 op_sel_hi:[1,0]
	v_add_u32_e32 v96, 0x720, v96
	v_add_u32_e32 v90, 0x720, v90
	v_pk_sub_i16 v60, v60, v91
	buffer_load_dword v91, v90, s[0:3], 0 offen
	buffer_load_dword v97, v96, s[0:3], 0 offen
	v_pk_add_u16 v61, s5, 4 op_sel_hi:[1,0]
	v_pk_add_u16 v62, s5, 6 op_sel_hi:[1,0]
	;; [unrolled: 1-line block ×4, first 2 shown]
	v_and_b32_e32 v82, 0xffff, v61
	v_and_b32_e32 v84, 0xffff, v62
	;; [unrolled: 1-line block ×3, first 2 shown]
	v_lshrrev_b32_e32 v83, 16, v61
	v_lshrrev_b32_e32 v85, 16, v62
	v_and_b32_e32 v86, 0xffff, v63
	v_lshrrev_b32_e32 v89, 16, v79
	v_mul_lo_u32 v82, v82, s34
	v_mul_lo_u32 v84, v84, s34
	;; [unrolled: 1-line block ×3, first 2 shown]
	v_lshrrev_b32_e32 v87, 16, v63
	v_mul_lo_u32 v83, v83, s34
	v_mul_lo_u32 v85, v85, s34
	v_mul_lo_u32 v86, v86, s34
	v_mul_lo_u32 v89, v89, s34
	v_lshrrev_b32_e32 v82, 20, v82
	v_lshrrev_b32_e32 v84, 20, v84
	;; [unrolled: 1-line block ×3, first 2 shown]
	v_mul_lo_u32 v87, v87, s34
	v_lshrrev_b32_e32 v83, 20, v83
	v_lshrrev_b32_e32 v85, 20, v85
	;; [unrolled: 1-line block ×4, first 2 shown]
	v_and_b32_e32 v92, 0xffff, v82
	v_and_b32_e32 v93, 0xffff, v84
	v_and_b32_e32 v95, 0xffff, v88
	v_lshrrev_b32_e32 v87, 20, v87
	v_and_b32_e32 v94, 0xffff, v86
	v_lshl_or_b32 v92, v83, 16, v92
	v_lshl_or_b32 v93, v85, 16, v93
	;; [unrolled: 1-line block ×4, first 2 shown]
	v_pk_mul_lo_u16 v92, v92, 30 op_sel_hi:[1,0]
	v_pk_mul_lo_u16 v93, v93, 30 op_sel_hi:[1,0]
	;; [unrolled: 1-line block ×4, first 2 shown]
	v_pk_sub_i16 v61, v61, v92
	v_pk_sub_i16 v62, v62, v93
	;; [unrolled: 1-line block ×4, first 2 shown]
	v_lshlrev_b32_sdwa v90, v73, v60 dst_sel:DWORD dst_unused:UNUSED_PAD src0_sel:DWORD src1_sel:WORD_0
	v_lshlrev_b32_sdwa v60, v73, v60 dst_sel:DWORD dst_unused:UNUSED_PAD src0_sel:DWORD src1_sel:WORD_1
	v_lshlrev_b32_sdwa v92, v73, v61 dst_sel:DWORD dst_unused:UNUSED_PAD src0_sel:DWORD src1_sel:WORD_0
	v_lshlrev_b32_sdwa v61, v73, v61 dst_sel:DWORD dst_unused:UNUSED_PAD src0_sel:DWORD src1_sel:WORD_1
	v_lshlrev_b32_sdwa v93, v73, v62 dst_sel:DWORD dst_unused:UNUSED_PAD src0_sel:DWORD src1_sel:WORD_0
	v_lshlrev_b32_sdwa v95, v73, v79 dst_sel:DWORD dst_unused:UNUSED_PAD src0_sel:DWORD src1_sel:WORD_0
	v_lshlrev_b32_sdwa v79, v73, v79 dst_sel:DWORD dst_unused:UNUSED_PAD src0_sel:DWORD src1_sel:WORD_1
	v_lshlrev_b32_sdwa v62, v73, v62 dst_sel:DWORD dst_unused:UNUSED_PAD src0_sel:DWORD src1_sel:WORD_1
	v_lshlrev_b32_sdwa v94, v73, v63 dst_sel:DWORD dst_unused:UNUSED_PAD src0_sel:DWORD src1_sel:WORD_0
	v_lshlrev_b32_sdwa v63, v73, v63 dst_sel:DWORD dst_unused:UNUSED_PAD src0_sel:DWORD src1_sel:WORD_1
	v_add_u32_e32 v90, 0x720, v90
	v_add_u32_e32 v60, 0x720, v60
	;; [unrolled: 1-line block ×6, first 2 shown]
	s_lshl_b32 s14, s14, 2
	v_add_u32_e32 v92, 0x720, v92
	v_add_u32_e32 v62, 0x720, v62
	;; [unrolled: 1-line block ×4, first 2 shown]
	buffer_load_dword v99, v90, s[0:3], 0 offen
	buffer_load_dword v100, v60, s[0:3], 0 offen
	;; [unrolled: 1-line block ×4, first 2 shown]
	s_nop 0
	buffer_load_dword v93, v93, s[0:3], 0 offen
	s_nop 0
	buffer_load_dword v103, v94, s[0:3], 0 offen
	buffer_load_dword v104, v63, s[0:3], 0 offen
	s_nop 0
	buffer_load_dword v95, v95, s[0:3], 0 offen
	s_nop 0
	;; [unrolled: 2-line block ×3, first 2 shown]
	buffer_load_dword v105, v62, s[0:3], 0 offen
	s_lshl_b32 s15, s15, 2
	v_add_u32_e32 v60, s14, v66
	v_lshlrev_b32_e32 v61, 2, v80
	v_add_u32_e32 v62, s15, v66
	v_lshlrev_b32_e32 v63, 2, v81
	;; [unrolled: 2-line block ×4, first 2 shown]
	v_lshlrev_b32_e32 v90, 2, v84
	v_lshlrev_b32_e32 v85, 2, v85
	;; [unrolled: 1-line block ×3, first 2 shown]
	s_waitcnt vmcnt(11)
	v_mad_u64_u32 v[62:63], s[14:15], v91, 56, v[62:63]
	s_waitcnt vmcnt(10)
	v_mad_u64_u32 v[60:61], s[14:15], v97, 56, v[60:61]
	buffer_load_dword v91, v60, s[0:3], 0 offen
	buffer_load_dword v97, v62, s[0:3], 0 offen
	v_lshlrev_b32_e32 v87, 2, v87
	v_lshlrev_b32_e32 v96, 2, v88
	;; [unrolled: 1-line block ×3, first 2 shown]
	v_add_u32_e32 v84, 16, v81
	v_add_u32_e32 v86, 16, v83
	;; [unrolled: 1-line block ×8, first 2 shown]
	s_waitcnt vmcnt(11)
	v_mad_u64_u32 v[60:61], s[14:15], v99, 56, v[80:81]
	s_waitcnt vmcnt(10)
	v_mad_u64_u32 v[62:63], s[14:15], v100, 56, v[82:83]
	;; [unrolled: 2-line block ×8, first 2 shown]
	v_mad_u64_u32 v[94:95], s[14:15], v79, 56, v[98:99]
	buffer_load_dword v63, v60, s[0:3], 0 offen
	s_nop 0
	buffer_load_dword v62, v62, s[0:3], 0 offen
	s_nop 0
	buffer_load_dword v79, v80, s[0:3], 0 offen
	s_nop 0
	buffer_load_dword v80, v82, s[0:3], 0 offen
	buffer_load_dword v81, v84, s[0:3], 0 offen
	s_nop 0
	buffer_load_dword v82, v86, s[0:3], 0 offen
	buffer_load_dword v83, v88, s[0:3], 0 offen
	;; [unrolled: 1-line block ×4, first 2 shown]
	v_mad_u64_u32 v[60:61], s[14:15], v105, 56, v[90:91]
	buffer_load_dword v60, v60, s[0:3], 0 offen
	v_add_u32_e32 v61, s4, v72
	v_pk_add_u16 v86, s5, 12 op_sel_hi:[1,0]
	s_add_i32 s4, s4, 48
	s_cmpk_eq_i32 s4, 0x630
	v_readfirstlane_b32 s5, v86
	buffer_store_dword v97, v61, s[0:3], 0 offen offset:4
	buffer_store_dword v91, v61, s[0:3], 0 offen
	s_waitcnt vmcnt(10)
	buffer_store_dword v62, v61, s[0:3], 0 offen offset:12
	buffer_store_dword v63, v61, s[0:3], 0 offen offset:8
	s_waitcnt vmcnt(10)
	buffer_store_dword v80, v61, s[0:3], 0 offen offset:20
	buffer_store_dword v79, v61, s[0:3], 0 offen offset:16
	s_waitcnt vmcnt(11)
	buffer_store_dword v81, v61, s[0:3], 0 offen offset:24
	s_waitcnt vmcnt(10)
	buffer_store_dword v83, v61, s[0:3], 0 offen offset:36
	buffer_store_dword v82, v61, s[0:3], 0 offen offset:32
	s_waitcnt vmcnt(10)
	buffer_store_dword v85, v61, s[0:3], 0 offen offset:44
	;; [unrolled: 3-line block ×3, first 2 shown]
	s_cbranch_scc0 .LBB1_112
; %bb.113:                              ;   in Loop: Header=BB1_64 Depth=1
	buffer_load_dword v60, off, s[0:3], 0 offset:1848
	buffer_load_dword v62, off, s[0:3], 0 offset:1952
	s_waitcnt vmcnt(1)
	v_mad_u64_u32 v[60:61], s[4:5], v60, 56, v[0:1]
	buffer_load_dword v61, v60, s[0:3], 0 offen
	s_mov_b32 s4, 4
	v_mov_b32_e32 v60, 0
	s_waitcnt vmcnt(0)
	buffer_store_dword v61, off, s[0:3], 0 offset:3536
.LBB1_114:                              ;   Parent Loop BB1_64 Depth=1
                                        ; =>  This Inner Loop Header: Depth=2
	v_mul_lo_u32 v63, v62, 26
	v_add_u32_e32 v62, s4, v72
	buffer_load_dword v79, v62, s[0:3], 0 offen
	buffer_load_dword v80, v62, s[0:3], 0 offen offset:4
	buffer_load_dword v81, v62, s[0:3], 0 offen offset:8
	;; [unrolled: 1-line block ×10, first 2 shown]
	s_nop 0
	buffer_load_dword v62, v62, s[0:3], 0 offen offset:44
	s_add_i32 s4, s4, 48
	s_cmpk_lg_i32 s4, 0x634
	s_waitcnt vmcnt(11)
	v_add_lshl_u32 v63, v63, v79, 2
	v_mul_lo_u32 v79, v79, 26
	s_waitcnt vmcnt(10)
	v_mul_lo_u32 v90, v80, 26
	s_waitcnt vmcnt(9)
	;; [unrolled: 2-line block ×10, first 2 shown]
	v_mul_lo_u32 v99, v89, 26
	v_add_lshl_u32 v79, v79, v80, 2
	v_add_lshl_u32 v80, v90, v81, 2
	;; [unrolled: 1-line block ×10, first 2 shown]
	s_waitcnt vmcnt(0)
	v_add_lshl_u32 v89, v99, v62, 2
	ds_read_b32 v63, v63
	ds_read_b32 v79, v79
	;; [unrolled: 1-line block ×12, first 2 shown]
	s_waitcnt lgkmcnt(11)
	v_add_f32_e32 v60, v60, v63
	s_waitcnt lgkmcnt(10)
	v_add_f32_e32 v60, v60, v79
	;; [unrolled: 2-line block ×12, first 2 shown]
	s_cbranch_scc1 .LBB1_114
; %bb.115:                              ;   in Loop: Header=BB1_64 Depth=1
	v_cmp_nlt_f32_e32 vcc, v60, v77
	s_and_saveexec_b64 s[4:5], vcc
	s_xor_b64 s[4:5], exec, s[4:5]
	s_cbranch_execnz .LBB1_117
; %bb.116:                              ;   in Loop: Header=BB1_64 Depth=1
	s_andn2_saveexec_b64 s[4:5], s[4:5]
	s_cbranch_execz .LBB1_63
	s_branch .LBB1_118
.LBB1_117:                              ;   in Loop: Header=BB1_64 Depth=1
	buffer_store_dword v76, off, s[0:3], 0 offset:1824
	buffer_store_dword v5, off, s[0:3], 0 offset:1832
	;; [unrolled: 1-line block ×30, first 2 shown]
                                        ; implicit-def: $vgpr3
                                        ; implicit-def: $vgpr32_vgpr33
                                        ; implicit-def: $vgpr34_vgpr35
                                        ; implicit-def: $vgpr36_vgpr37
                                        ; implicit-def: $vgpr38_vgpr39
                                        ; implicit-def: $vgpr40_vgpr41
                                        ; implicit-def: $vgpr42_vgpr43
                                        ; implicit-def: $vgpr44_vgpr45
                                        ; implicit-def: $vgpr46_vgpr47
                                        ; implicit-def: $vgpr54_vgpr55
                                        ; implicit-def: $vgpr52_vgpr53
                                        ; implicit-def: $vgpr50_vgpr51
                                        ; implicit-def: $vgpr48_vgpr49
                                        ; implicit-def: $vgpr58_vgpr59
                                        ; implicit-def: $vgpr56_vgpr57
                                        ; implicit-def: $vgpr78
                                        ; implicit-def: $vgpr61
	s_andn2_saveexec_b64 s[4:5], s[4:5]
	s_cbranch_execz .LBB1_63
.LBB1_118:                              ;   in Loop: Header=BB1_64 Depth=1
	s_mov_b32 s14, 0
.LBB1_119:                              ;   Parent Loop BB1_64 Depth=1
                                        ; =>  This Inner Loop Header: Depth=2
	v_add_u32_e32 v4, s14, v72
	buffer_load_dword v5, v4, s[0:3], 0 offen offset:4
	buffer_load_dword v6, v4, s[0:3], 0 offen
	buffer_load_dword v7, v4, s[0:3], 0 offen offset:12
	buffer_load_dword v8, v4, s[0:3], 0 offen offset:8
	;; [unrolled: 1-line block ×41, first 2 shown]
	s_nop 0
	buffer_load_dword v4, v4, s[0:3], 0 offen offset:172
	v_add_u32_e32 v90, s14, v65
	s_addk_i32 s14, 0xb0
	s_cmpk_eq_i32 s14, 0x630
	s_waitcnt vmcnt(43)
	buffer_store_dword v5, v90, s[0:3], 0 offen offset:4
	s_waitcnt vmcnt(43)
	buffer_store_dword v6, v90, s[0:3], 0 offen
	s_waitcnt vmcnt(43)
	buffer_store_dword v7, v90, s[0:3], 0 offen offset:12
	s_waitcnt vmcnt(43)
	buffer_store_dword v8, v90, s[0:3], 0 offen offset:8
	;; [unrolled: 2-line block ×42, first 2 shown]
	s_cbranch_scc0 .LBB1_119
; %bb.120:                              ;   in Loop: Header=BB1_64 Depth=1
	v_pk_mov_b32 v[4:5], v[32:33], v[32:33] op_sel:[0,1]
	v_pk_mov_b32 v[6:7], v[34:35], v[34:35] op_sel:[0,1]
	;; [unrolled: 1-line block ×14, first 2 shown]
	v_mov_b32_e32 v77, v60
	v_mov_b32_e32 v76, v3
	;; [unrolled: 1-line block ×3, first 2 shown]
	buffer_store_dword v61, v64, s[0:3], 0 offen
	s_branch .LBB1_63
.LBB1_121:
	s_movk_i32 s4, 0x18d
	v_mul_lo_u32 v0, v2, s4
	v_ashrrev_i32_e32 v1, 31, v0
	v_lshlrev_b64 v[0:1], 2, v[0:1]
	v_mov_b32_e32 v2, s7
	v_add_co_u32_e32 v0, vcc, s6, v0
	v_addc_co_u32_e64 v2, s[4:5], v2, v1, vcc
	v_mov_b32_e32 v3, 0xde0
	s_mov_b64 s[8:9], 0
.LBB1_122:                              ; =>This Inner Loop Header: Depth=1
	buffer_load_dword v4, v3, s[0:3], 0 offen
	buffer_load_dword v5, v3, s[0:3], 0 offen offset:4
	buffer_load_dword v6, v3, s[0:3], 0 offen offset:8
	buffer_load_dword v7, v3, s[0:3], 0 offen offset:12
	buffer_load_dword v8, v3, s[0:3], 0 offen offset:16
	buffer_load_dword v9, v3, s[0:3], 0 offen offset:20
	buffer_load_dword v10, v3, s[0:3], 0 offen offset:24
	buffer_load_dword v11, v3, s[0:3], 0 offen offset:28
	buffer_load_dword v12, v3, s[0:3], 0 offen offset:32
	buffer_load_dword v13, v3, s[0:3], 0 offen offset:36
	buffer_load_dword v14, v3, s[0:3], 0 offen offset:40
	buffer_load_dword v15, v3, s[0:3], 0 offen offset:44
	buffer_load_dword v16, v3, s[0:3], 0 offen offset:48
	buffer_load_dword v17, v3, s[0:3], 0 offen offset:52
	buffer_load_dword v18, v3, s[0:3], 0 offen offset:56
	buffer_load_dword v19, v3, s[0:3], 0 offen offset:60
	buffer_load_dword v23, v3, s[0:3], 0 offen offset:92
	buffer_load_dword v22, v3, s[0:3], 0 offen offset:88
	buffer_load_dword v21, v3, s[0:3], 0 offen offset:84
	buffer_load_dword v20, v3, s[0:3], 0 offen offset:80
	buffer_load_dword v27, v3, s[0:3], 0 offen offset:76
	buffer_load_dword v26, v3, s[0:3], 0 offen offset:72
	buffer_load_dword v25, v3, s[0:3], 0 offen offset:68
	buffer_load_dword v24, v3, s[0:3], 0 offen offset:64
	buffer_load_dword v28, v3, s[0:3], 0 offen offset:96
	buffer_load_dword v29, v3, s[0:3], 0 offen offset:100
	buffer_load_dword v30, v3, s[0:3], 0 offen offset:104
	buffer_load_dword v31, v3, s[0:3], 0 offen offset:108
	buffer_load_dword v32, v3, s[0:3], 0 offen offset:112
	buffer_load_dword v33, v3, s[0:3], 0 offen offset:116
	buffer_load_dword v34, v3, s[0:3], 0 offen offset:120
	buffer_load_dword v35, v3, s[0:3], 0 offen offset:124
	buffer_load_dword v36, v3, s[0:3], 0 offen offset:128
	buffer_load_dword v37, v3, s[0:3], 0 offen offset:132
	buffer_load_dword v38, v3, s[0:3], 0 offen offset:136
	buffer_load_dword v39, v3, s[0:3], 0 offen offset:140
	v_add_co_u32_e64 v40, s[4:5], s8, v0
	s_add_u32 s8, s8, 0x90
	v_mov_b32_e32 v41, s9
	s_addc_u32 s9, s9, 0
	v_add_u32_e32 v3, 0x90, v3
	v_addc_co_u32_e64 v41, s[4:5], v2, v41, s[4:5]
	s_cmpk_eq_i32 s8, 0x630
	s_waitcnt vmcnt(32)
	global_store_dwordx4 v[40:41], v[4:7], off
	s_waitcnt vmcnt(29)
	global_store_dwordx4 v[40:41], v[8:11], off offset:16
	s_waitcnt vmcnt(26)
	global_store_dwordx4 v[40:41], v[12:15], off offset:32
	s_waitcnt vmcnt(23)
	global_store_dwordx4 v[40:41], v[16:19], off offset:48
	s_waitcnt vmcnt(16)
	global_store_dwordx4 v[40:41], v[24:27], off offset:64
	global_store_dwordx4 v[40:41], v[20:23], off offset:80
	s_waitcnt vmcnt(14)
	global_store_dwordx4 v[40:41], v[28:31], off offset:96
	s_waitcnt vmcnt(11)
	;; [unrolled: 2-line block ×3, first 2 shown]
	global_store_dwordx4 v[40:41], v[36:39], off offset:128
	s_cbranch_scc0 .LBB1_122
; %bb.123:
	buffer_load_dword v2, v64, s[0:3], 0 offen
	v_mov_b32_e32 v3, s7
	v_addc_co_u32_e32 v1, vcc, v3, v1, vcc
	s_waitcnt vmcnt(0)
	global_store_dword v[0:1], v2, off offset:1584
	s_endpgm
	.section	.rodata,"a",@progbits
	.p2align	6, 0x0
	.amdhsa_kernel _Z6decodePKfPKiPKjPi
		.amdhsa_group_segment_fixed_size 2704
		.amdhsa_private_segment_fixed_size 5280
		.amdhsa_kernarg_size 288
		.amdhsa_user_sgpr_count 8
		.amdhsa_user_sgpr_private_segment_buffer 1
		.amdhsa_user_sgpr_dispatch_ptr 0
		.amdhsa_user_sgpr_queue_ptr 0
		.amdhsa_user_sgpr_kernarg_segment_ptr 1
		.amdhsa_user_sgpr_dispatch_id 0
		.amdhsa_user_sgpr_flat_scratch_init 1
		.amdhsa_user_sgpr_kernarg_preload_length 0
		.amdhsa_user_sgpr_kernarg_preload_offset 0
		.amdhsa_user_sgpr_private_segment_size 0
		.amdhsa_uses_dynamic_stack 0
		.amdhsa_system_sgpr_private_segment_wavefront_offset 1
		.amdhsa_system_sgpr_workgroup_id_x 1
		.amdhsa_system_sgpr_workgroup_id_y 0
		.amdhsa_system_sgpr_workgroup_id_z 0
		.amdhsa_system_sgpr_workgroup_info 0
		.amdhsa_system_vgpr_workitem_id 0
		.amdhsa_next_free_vgpr 106
		.amdhsa_next_free_sgpr 52
		.amdhsa_accum_offset 108
		.amdhsa_reserve_vcc 1
		.amdhsa_reserve_flat_scratch 0
		.amdhsa_float_round_mode_32 0
		.amdhsa_float_round_mode_16_64 0
		.amdhsa_float_denorm_mode_32 3
		.amdhsa_float_denorm_mode_16_64 3
		.amdhsa_dx10_clamp 1
		.amdhsa_ieee_mode 1
		.amdhsa_fp16_overflow 0
		.amdhsa_tg_split 0
		.amdhsa_exception_fp_ieee_invalid_op 0
		.amdhsa_exception_fp_denorm_src 0
		.amdhsa_exception_fp_ieee_div_zero 0
		.amdhsa_exception_fp_ieee_overflow 0
		.amdhsa_exception_fp_ieee_underflow 0
		.amdhsa_exception_fp_ieee_inexact 0
		.amdhsa_exception_int_div_zero 0
	.end_amdhsa_kernel
	.text
.Lfunc_end1:
	.size	_Z6decodePKfPKiPKjPi, .Lfunc_end1-_Z6decodePKfPKiPKjPi
                                        ; -- End function
	.section	.AMDGPU.csdata,"",@progbits
; Kernel info:
; codeLenInByte = 17452
; NumSgprs: 56
; NumVgprs: 106
; NumAgprs: 0
; TotalNumVgprs: 106
; ScratchSize: 5280
; MemoryBound: 0
; FloatMode: 240
; IeeeMode: 1
; LDSByteSize: 2704 bytes/workgroup (compile time only)
; SGPRBlocks: 6
; VGPRBlocks: 13
; NumSGPRsForWavesPerEU: 56
; NumVGPRsForWavesPerEU: 106
; AccumOffset: 108
; Occupancy: 4
; WaveLimiterHint : 1
; COMPUTE_PGM_RSRC2:SCRATCH_EN: 1
; COMPUTE_PGM_RSRC2:USER_SGPR: 8
; COMPUTE_PGM_RSRC2:TRAP_HANDLER: 0
; COMPUTE_PGM_RSRC2:TGID_X_EN: 1
; COMPUTE_PGM_RSRC2:TGID_Y_EN: 0
; COMPUTE_PGM_RSRC2:TGID_Z_EN: 0
; COMPUTE_PGM_RSRC2:TIDIG_COMP_CNT: 0
; COMPUTE_PGM_RSRC3_GFX90A:ACCUM_OFFSET: 26
; COMPUTE_PGM_RSRC3_GFX90A:TG_SPLIT: 0
	.text
	.p2alignl 6, 3212836864
	.fill 256, 4, 3212836864
	.type	__hip_cuid_12d46d4343b0263b,@object ; @__hip_cuid_12d46d4343b0263b
	.section	.bss,"aw",@nobits
	.globl	__hip_cuid_12d46d4343b0263b
__hip_cuid_12d46d4343b0263b:
	.byte	0                               ; 0x0
	.size	__hip_cuid_12d46d4343b0263b, 1

	.ident	"AMD clang version 19.0.0git (https://github.com/RadeonOpenCompute/llvm-project roc-6.4.0 25133 c7fe45cf4b819c5991fe208aaa96edf142730f1d)"
	.section	".note.GNU-stack","",@progbits
	.addrsig
	.addrsig_sym __hip_cuid_12d46d4343b0263b
	.amdgpu_metadata
---
amdhsa.kernels:
  - .agpr_count:     0
    .args:
      - .address_space:  global
        .offset:         0
        .size:           8
        .value_kind:     global_buffer
      - .offset:         8
        .size:           4
        .value_kind:     hidden_block_count_x
      - .offset:         12
        .size:           4
        .value_kind:     hidden_block_count_y
      - .offset:         16
        .size:           4
        .value_kind:     hidden_block_count_z
      - .offset:         20
        .size:           2
        .value_kind:     hidden_group_size_x
      - .offset:         22
        .size:           2
        .value_kind:     hidden_group_size_y
      - .offset:         24
        .size:           2
        .value_kind:     hidden_group_size_z
      - .offset:         26
        .size:           2
        .value_kind:     hidden_remainder_x
      - .offset:         28
        .size:           2
        .value_kind:     hidden_remainder_y
      - .offset:         30
        .size:           2
        .value_kind:     hidden_remainder_z
      - .offset:         48
        .size:           8
        .value_kind:     hidden_global_offset_x
      - .offset:         56
        .size:           8
        .value_kind:     hidden_global_offset_y
      - .offset:         64
        .size:           8
        .value_kind:     hidden_global_offset_z
      - .offset:         72
        .size:           2
        .value_kind:     hidden_grid_dims
    .group_segment_fixed_size: 0
    .kernarg_segment_align: 8
    .kernarg_segment_size: 264
    .language:       OpenCL C
    .language_version:
      - 2
      - 0
    .max_flat_workgroup_size: 1024
    .name:           _Z11setupKernelPj
    .private_segment_fixed_size: 0
    .sgpr_count:     11
    .sgpr_spill_count: 0
    .symbol:         _Z11setupKernelPj.kd
    .uniform_work_group_size: 1
    .uses_dynamic_stack: false
    .vgpr_count:     6
    .vgpr_spill_count: 0
    .wavefront_size: 64
  - .agpr_count:     0
    .args:
      - .actual_access:  read_only
        .address_space:  global
        .offset:         0
        .size:           8
        .value_kind:     global_buffer
      - .actual_access:  read_only
        .address_space:  global
        .offset:         8
        .size:           8
        .value_kind:     global_buffer
      - .actual_access:  read_only
        .address_space:  global
        .offset:         16
        .size:           8
        .value_kind:     global_buffer
      - .actual_access:  write_only
        .address_space:  global
        .offset:         24
        .size:           8
        .value_kind:     global_buffer
      - .offset:         32
        .size:           4
        .value_kind:     hidden_block_count_x
      - .offset:         36
        .size:           4
        .value_kind:     hidden_block_count_y
      - .offset:         40
        .size:           4
        .value_kind:     hidden_block_count_z
      - .offset:         44
        .size:           2
        .value_kind:     hidden_group_size_x
      - .offset:         46
        .size:           2
        .value_kind:     hidden_group_size_y
      - .offset:         48
        .size:           2
        .value_kind:     hidden_group_size_z
      - .offset:         50
        .size:           2
        .value_kind:     hidden_remainder_x
      - .offset:         52
        .size:           2
        .value_kind:     hidden_remainder_y
      - .offset:         54
        .size:           2
        .value_kind:     hidden_remainder_z
      - .offset:         72
        .size:           8
        .value_kind:     hidden_global_offset_x
      - .offset:         80
        .size:           8
        .value_kind:     hidden_global_offset_y
      - .offset:         88
        .size:           8
        .value_kind:     hidden_global_offset_z
      - .offset:         96
        .size:           2
        .value_kind:     hidden_grid_dims
    .group_segment_fixed_size: 2704
    .kernarg_segment_align: 8
    .kernarg_segment_size: 288
    .language:       OpenCL C
    .language_version:
      - 2
      - 0
    .max_flat_workgroup_size: 1024
    .name:           _Z6decodePKfPKiPKjPi
    .private_segment_fixed_size: 5280
    .sgpr_count:     56
    .sgpr_spill_count: 0
    .symbol:         _Z6decodePKfPKiPKjPi.kd
    .uniform_work_group_size: 1
    .uses_dynamic_stack: false
    .vgpr_count:     106
    .vgpr_spill_count: 0
    .wavefront_size: 64
amdhsa.target:   amdgcn-amd-amdhsa--gfx90a
amdhsa.version:
  - 1
  - 2
...

	.end_amdgpu_metadata
